;; amdgpu-corpus repo=ROCm/aiter kind=harvested arch=n/a opt=n/a

/root/src/amdgpu-assembly/repos/ROCm__aiter/hsa/gfx950/fmha_v3_bwd/bwd_hd192_128_bf16_causal_a32_pssk.co:	file format elf64-amdgpu

Disassembly of section .text:

0000000000004000 <_ZN5aiter39fmha_bwd_hd192_128_bf16_causal_a32_psskE>:
	s_and_b32 s1, s1, 0xffff                                   // 000000004000: 8601FF01 0000FFFF
	s_load_dwordx2 s[32:33], s[0:1], 0x0                       // 000000004008: C0060800 00000000
	s_load_dwordx2 s[36:37], s[0:1], 0x10                      // 000000004010: C0060900 00000010
	s_load_dwordx2 s[40:41], s[0:1], 0x20                      // 000000004018: C0060A00 00000020
	s_load_dwordx2 s[8:9], s[0:1], 0x30                        // 000000004020: C0060200 00000030
	s_load_dwordx2 s[12:13], s[0:1], 0x40                      // 000000004028: C0060300 00000040
	s_load_dwordx2 s[16:17], s[0:1], 0x50                      // 000000004030: C0060400 00000050
	s_load_dwordx2 s[20:21], s[0:1], 0x60                      // 000000004038: C0060500 00000060
	s_load_dwordx2 s[24:25], s[0:1], 0x70                      // 000000004040: C0060600 00000070
	s_load_dwordx2 s[28:29], s[0:1], 0x80                      // 000000004048: C0060700 00000080
	s_load_dword s47, s[0:1], 0x90                             // 000000004050: C0020BC0 00000090
	s_load_dword s48, s[0:1], 0xa0                             // 000000004058: C0020C00 000000A0
	s_load_dword s49, s[0:1], 0xb0                             // 000000004060: C0020C40 000000B0
	s_load_dword s78, s[0:1], 0xd0                             // 000000004068: C0021380 000000D0
	s_load_dword s79, s[0:1], 0xe0                             // 000000004070: C00213C0 000000E0
	s_load_dword s5, s[0:1], 0xf0                              // 000000004078: C0020140 000000F0
	s_load_dword s44, s[0:1], 0x100                            // 000000004080: C0020B00 00000100
	s_load_dword s80, s[0:1], 0x110                            // 000000004088: C0021400 00000110
	s_load_dword s81, s[0:1], 0x120                            // 000000004090: C0021440 00000120
	s_load_dword s6, s[0:1], 0x130                             // 000000004098: C0020180 00000130
	s_load_dword s52, s[0:1], 0x140                            // 0000000040A0: C0020D00 00000140
	s_load_dword s50, s[0:1], 0x150                            // 0000000040A8: C0020C80 00000150
	s_load_dword s63, s[0:1], 0x160                            // 0000000040B0: C0020FC0 00000160
	s_load_dword s64, s[0:1], 0x180                            // 0000000040B8: C0021000 00000180
	s_load_dword s82, s[0:1], 0x190                            // 0000000040C0: C0021480 00000190
	s_load_dword s83, s[0:1], 0x1a0                            // 0000000040C8: C00214C0 000001A0
	s_load_dword s7, s[0:1], 0x1b0                             // 0000000040D0: C00201C0 000001B0
	s_load_dword s84, s[0:1], 0x1c0                            // 0000000040D8: C0021500 000001C0
	s_load_dword s85, s[0:1], 0x1d0                            // 0000000040E0: C0021540 000001D0
	s_load_dword s51, s[0:1], 0x1e0                            // 0000000040E8: C0020CC0 000001E0
	s_load_dword s86, s[0:1], 0x1f0                            // 0000000040F0: C0021580 000001F0
	s_load_dword s87, s[0:1], 0x200                            // 0000000040F8: C00215C0 00000200
	s_load_dword s88, s[0:1], 0x210                            // 000000004100: C0021600 00000210
	s_load_dword s89, s[0:1], 0x220                            // 000000004108: C0021640 00000220
	s_load_dword s53, s[0:1], 0x230                            // 000000004110: C0020D40 00000230
	v_lshrrev_b32_e32 v1, 10, v0                               // 000000004118: 2002008A
	v_lshrrev_b32_e32 v2, 10, v1                               // 00000000411C: 2004028A
	v_and_b32_e32 v2, 0x3ff, v2                                // 000000004120: 260404FF 000003FF
	v_and_b32_e32 v1, 0x3ff, v1                                // 000000004128: 260202FF 000003FF
	v_and_b32_e32 v0, 0x3ff, v0                                // 000000004130: 260000FF 000003FF
	v_lshrrev_b32_e32 v3, 6, v0                                // 000000004138: 20060086
	v_and_b32_e32 v0, 63, v0                                   // 00000000413C: 260000BF
	s_mov_b32 s2, s2                                           // 000000004140: BE820002
	s_mov_b32 s3, s3                                           // 000000004144: BE830003
	s_mov_b32 s4, s4                                           // 000000004148: BE840004
	v_readfirstlane_b32 s46, v3                                // 00000000414C: 7E5C0503
	s_waitcnt lgkmcnt(0)                                       // 000000004150: BF8CC07F
	s_mov_b32 s11, 0x20000                                     // 000000004154: BE8B00FF 00020000
	s_mov_b32 s15, 0x20000                                     // 00000000415C: BE8F00FF 00020000
	s_mov_b32 s19, 0x20000                                     // 000000004164: BE9300FF 00020000
	s_mov_b32 s23, 0x20000                                     // 00000000416C: BE9700FF 00020000
	s_mov_b32 s27, 0x20000                                     // 000000004174: BE9B00FF 00020000
	s_mov_b32 s31, 0x20000                                     // 00000000417C: BE9F00FF 00020000
	s_mov_b32 s35, 0x20000                                     // 000000004184: BEA300FF 00020000
	s_mov_b32 s39, 0x20000                                     // 00000000418C: BEA700FF 00020000
	s_mov_b32 s43, 0x20000                                     // 000000004194: BEAB00FF 00020000
	s_and_b32 s9, s9, 0xffff                                   // 00000000419C: 8609FF09 0000FFFF
	s_and_b32 s13, s13, 0xffff                                 // 0000000041A4: 860DFF0D 0000FFFF
	s_and_b32 s17, s17, 0xffff                                 // 0000000041AC: 8611FF11 0000FFFF
	s_and_b32 s21, s21, 0xffff                                 // 0000000041B4: 8615FF15 0000FFFF
	s_and_b32 s25, s25, 0xffff                                 // 0000000041BC: 8619FF19 0000FFFF
	s_and_b32 s29, s29, 0xffff                                 // 0000000041C4: 861DFF1D 0000FFFF
	s_and_b32 s33, s33, 0xffff                                 // 0000000041CC: 8621FF21 0000FFFF
	s_and_b32 s37, s37, 0xffff                                 // 0000000041D4: 8625FF25 0000FFFF
	s_and_b32 s41, s41, 0xffff                                 // 0000000041DC: 8629FF29 0000FFFF
	s_or_b32 s9, s9, 0x40000                                   // 0000000041E4: 8709FF09 00040000
	s_or_b32 s13, s13, 0x40000                                 // 0000000041EC: 870DFF0D 00040000
	s_or_b32 s17, s17, 0x40000                                 // 0000000041F4: 8711FF11 00040000
	s_or_b32 s21, s21, 0x40000                                 // 0000000041FC: 8715FF15 00040000
	s_or_b32 s25, s25, 0x40000                                 // 000000004204: 8719FF19 00040000
	s_or_b32 s29, s29, 0x40000                                 // 00000000420C: 871DFF1D 00040000
	s_or_b32 s33, s33, 0x40000                                 // 000000004214: 8721FF21 00040000
	s_or_b32 s37, s37, 0x40000                                 // 00000000421C: 8725FF25 00040000
	s_or_b32 s41, s41, 0x40000                                 // 000000004224: 8729FF29 00040000
	v_accvgpr_write_b32 a255, 0                                // 00000000422C: D3D940FF 18000080
	v_mov_b32_e32 v255, 0                                      // 000000004234: 7FFE0280
	s_mov_b32 s71, s3                                          // 000000004238: BEC70003
	v_cvt_f32_u32_e32 v32, s44                                 // 00000000423C: 7E400C2C
	s_sub_i32 s60, 0, s44                                      // 000000004240: 81BC2C80
	v_rcp_iflag_f32_e32 v32, v32                               // 000000004244: 7E404720
	s_nop 0                                                    // 000000004248: BF800000
	v_mul_f32_e32 v32, 0x4f7ffffe, v32                         // 00000000424C: 0A4040FF 4F7FFFFE
	v_cvt_u32_f32_e32 v32, v32                                 // 000000004254: 7E400F20
	v_mul_lo_u32 v33, s60, v32                                 // 000000004258: D2850021 0002403C
	v_mul_hi_u32 v33, v32, v33                                 // 000000004260: D2860021 00024320
	v_add_u32_e32 v32, v32, v33                                // 000000004268: 68404320
	v_mul_hi_u32 v32, s71, v32                                 // 00000000426C: D2860020 00024047
	v_mul_lo_u32 v33, v32, s44                                 // 000000004274: D2850021 00005920
	v_sub_u32_e32 v35, s71, v33                                // 00000000427C: 6A464247
	v_add_u32_e32 v34, 1, v32                                  // 000000004280: 68444081
	v_cmp_le_u32_e32 vcc, s44, v35                             // 000000004284: 7D96462C
	v_subrev_u32_e32 v33, s44, v35                             // 000000004288: 6C42462C
	s_nop 0                                                    // 00000000428C: BF800000
	v_cndmask_b32_e32 v32, v32, v34, vcc                       // 000000004290: 00404520
	v_cndmask_b32_e32 v35, v35, v33, vcc                       // 000000004294: 00464323
	v_add_u32_e32 v33, 1, v32                                  // 000000004298: 68424081
	v_cmp_le_u32_e32 vcc, s44, v35                             // 00000000429C: 7D96462C
	s_nop 1                                                    // 0000000042A0: BF800001
	v_cndmask_b32_e32 v35, v32, v33, vcc                       // 0000000042A4: 00464320
	s_nop 3                                                    // 0000000042A8: BF800003
	v_readfirstlane_b32 s45, v35                               // 0000000042AC: 7E5A0523
	s_nop 3                                                    // 0000000042B0: BF800003
	s_mul_i32 s61, s45, s80                                    // 0000000042B4: 923D502D
	s_add_u32 s12, s61, s12                                    // 0000000042B8: 800C0C3D
	s_addc_u32 s13, 0, s13                                     // 0000000042BC: 820D0D80
	s_mul_i32 s60, s4, s81                                     // 0000000042C0: 923C5104
	s_mul_hi_u32 s61, s4, s81                                  // 0000000042C4: 963D5104
	s_and_b32 s61, s61, 0xffff                                 // 0000000042C8: 863DFF3D 0000FFFF
	s_add_u32 s12, s12, s60                                    // 0000000042D0: 800C3C0C
	s_addc_u32 s13, s13, s61                                   // 0000000042D4: 820D3D0D
	s_mul_i32 s61, s45, s82                                    // 0000000042D8: 923D522D
	s_add_u32 s16, s61, s16                                    // 0000000042DC: 8010103D
	s_addc_u32 s17, 0, s17                                     // 0000000042E0: 82111180
	s_mul_i32 s60, s4, s83                                     // 0000000042E4: 923C5304
	s_mul_hi_u32 s61, s4, s83                                  // 0000000042E8: 963D5304
	s_and_b32 s61, s61, 0xffff                                 // 0000000042EC: 863DFF3D 0000FFFF
	s_add_u32 s16, s16, s60                                    // 0000000042F4: 80103C10
	s_addc_u32 s17, s17, s61                                   // 0000000042F8: 82113D11
	s_mul_i32 s61, s3, s78                                     // 0000000042FC: 923D4E03
	s_mul_i32 s62, s4, s79                                     // 000000004300: 923E4F04
	s_mov_b32 s55, s61                                         // 000000004304: BEB7003D
	s_add_u32 s8, s55, s8                                      // 000000004308: 80080837
	s_addc_u32 s9, 0, s9                                       // 00000000430C: 82090980
	s_mul_i32 s60, s5, s49                                     // 000000004310: 923C3105
	s_sub_i32 s61, s60, s61                                    // 000000004314: 81BD3D3C
	s_cmp_gt_i32 s5, s78                                       // 000000004318: BF024E05
	s_cselect_b32 s60, s61, s60                                // 00000000431C: 853C3C3D
	s_sub_i32 s61, s60, s62                                    // 000000004320: 81BD3E3C
	s_cmp_gt_i32 s5, s79                                       // 000000004324: BF024F05
	s_cselect_b32 s60, s61, s60                                // 000000004328: 853C3C3D
	s_lshr_b32 s60, s60, 2                                     // 00000000432C: 8F3C823C
	s_mov_b32 s10, s60                                         // 000000004330: BE8A003C
	s_mul_hi_u32 s60, s4, s79                                  // 000000004334: 963C4F04
	s_and_b32 s60, s60, 0xffff                                 // 000000004338: 863CFF3C 0000FFFF
	s_add_u32 s8, s8, s62                                      // 000000004340: 80083E08
	s_addc_u32 s9, s9, s60                                     // 000000004344: 82093C09
	s_mul_i32 s61, s3, s84                                     // 000000004348: 923D5403
	s_mul_i32 s62, s4, s85                                     // 00000000434C: 923E5504
	s_mov_b32 s56, s61                                         // 000000004350: BEB8003D
	s_add_u32 s20, s56, s20                                    // 000000004354: 80141438
	s_addc_u32 s21, 0, s21                                     // 000000004358: 82151580
	s_mul_i32 s60, s51, s49                                    // 00000000435C: 923C3133
	s_sub_i32 s61, s60, s61                                    // 000000004360: 81BD3D3C
	s_cmp_gt_i32 s51, s84                                      // 000000004364: BF025433
	s_cselect_b32 s60, s61, s60                                // 000000004368: 853C3C3D
	s_sub_i32 s61, s60, s62                                    // 00000000436C: 81BD3E3C
	s_cmp_gt_i32 s51, s85                                      // 000000004370: BF025533
	s_cselect_b32 s60, s61, s60                                // 000000004374: 853C3C3D
	s_lshr_b32 s60, s60, 2                                     // 000000004378: 8F3C823C
	s_mov_b32 s22, s60                                         // 00000000437C: BE96003C
	s_mul_hi_u32 s60, s4, s85                                  // 000000004380: 963C5504
	s_and_b32 s60, s60, 0xffff                                 // 000000004384: 863CFF3C 0000FFFF
	s_add_u32 s20, s20, s62                                    // 00000000438C: 80143E14
	s_addc_u32 s21, s21, s60                                   // 000000004390: 82153C15
	s_mul_i32 s62, s64, s49                                    // 000000004394: 923E3140
	s_lshl_b32 s62, s62, 2                                     // 000000004398: 8E3E823E
	s_mul_i32 s61, s3, s49                                     // 00000000439C: 923D3103
	s_mul_i32 s61, 4, s61                                      // 0000000043A0: 923D3D84
	s_mul_i32 s60, s4, s62                                     // 0000000043A4: 923C3E04
	s_mul_hi_u32 s62, s4, s62                                  // 0000000043A8: 963E3E04
	s_add_u32 s65, s61, s60                                    // 0000000043AC: 80413C3D
	s_addc_u32 s62, s62, 0                                     // 0000000043B0: 823E803E
	s_mov_b32 s26, s49                                         // 0000000043B4: BE9A0031
	s_mov_b32 s30, s49                                         // 0000000043B8: BE9E0031
	s_and_b32 s62, s62, 0xffff                                 // 0000000043BC: 863EFF3E 0000FFFF
	s_add_u32 s24, s65, s24                                    // 0000000043C4: 80181841
	s_addc_u32 s25, s62, s25                                   // 0000000043C8: 8219193E
	s_add_u32 s28, s65, s28                                    // 0000000043CC: 801C1C41
	s_addc_u32 s29, s62, s29                                   // 0000000043D0: 821D1D3E
	s_mul_i32 s61, s3, s86                                     // 0000000043D4: 923D5603
	s_add_u32 s36, s61, s36                                    // 0000000043D8: 8024243D
	s_addc_u32 s37, 0, s37                                     // 0000000043DC: 82252580
	s_mul_i32 s60, s50, s52                                    // 0000000043E0: 923C3432
	s_mov_b32 s38, s60                                         // 0000000043E4: BEA6003C
	s_mul_i32 s60, s4, s87                                     // 0000000043E8: 923C5704
	s_mul_hi_u32 s61, s4, s87                                  // 0000000043EC: 963D5704
	s_and_b32 s61, s61, 0xffff                                 // 0000000043F0: 863DFF3D 0000FFFF
	s_add_u32 s36, s36, s60                                    // 0000000043F8: 80243C24
	s_addc_u32 s37, s37, s61                                   // 0000000043FC: 82253D25
	s_mul_i32 s61, s3, s88                                     // 000000004400: 923D5803
	s_add_u32 s40, s61, s40                                    // 000000004404: 8028283D
	s_addc_u32 s41, 0, s41                                     // 000000004408: 82292980
	s_mul_i32 s60, s50, s53                                    // 00000000440C: 923C3532
	s_mov_b32 s42, s60                                         // 000000004410: BEAA003C
	s_mul_i32 s60, s4, s89                                     // 000000004414: 923C5904
	s_mul_hi_u32 s61, s4, s89                                  // 000000004418: 963D5904
	s_and_b32 s61, s61, 0xffff                                 // 00000000441C: 863DFF3D 0000FFFF
	s_add_u32 s40, s40, s60                                    // 000000004424: 80283C28
	s_addc_u32 s41, s41, s61                                   // 000000004428: 82293D29
	s_mul_i32 s60, s63, s65                                    // 00000000442C: 923C413F
	s_mul_hi_u32 s61, s63, s65                                 // 000000004430: 963D413F
	s_and_b32 s61, s61, 0xffff                                 // 000000004434: 863DFF3D 0000FFFF
	s_add_u32 s32, s60, s32                                    // 00000000443C: 8020203C
	s_addc_u32 s33, s61, s33                                   // 000000004440: 8221213D
	s_mul_i32 s60, s63, s49                                    // 000000004444: 923C313F
	s_lshl_b32 s60, s60, 2                                     // 000000004448: 8E3C823C
	s_mov_b32 s34, s60                                         // 00000000444C: BEA2003C
	s_mov_b32 s93, s8                                          // 000000004450: BEDD0008
	s_mov_b32 s95, s12                                         // 000000004454: BEDF000C
	s_mov_b32 s97, s16                                         // 000000004458: BEE10010
	s_mov_b32 s99, s20                                         // 00000000445C: BEE30014
	s_mov_b32 s94, s9                                          // 000000004460: BEDE0009
	s_mov_b32 s96, s13                                         // 000000004464: BEE0000D
	s_mov_b32 s98, s17                                         // 000000004468: BEE20011
	s_mov_b32 s100, s21                                        // 00000000446C: BEE40015
	s_add_u32 s71, 0xbf, s50                                   // 000000004470: 804732FF 000000BF
	s_mov_b32 s74, 0xc0                                        // 000000004478: BECA00FF 000000C0
	v_cvt_f32_u32_e32 v32, s74                                 // 000000004480: 7E400C4A
	s_sub_i32 s60, 0, s74                                      // 000000004484: 81BC4A80
	v_rcp_iflag_f32_e32 v32, v32                               // 000000004488: 7E404720
	s_nop 0                                                    // 00000000448C: BF800000
	v_mul_f32_e32 v32, 0x4f7ffffe, v32                         // 000000004490: 0A4040FF 4F7FFFFE
	v_cvt_u32_f32_e32 v32, v32                                 // 000000004498: 7E400F20
	v_mul_lo_u32 v33, s60, v32                                 // 00000000449C: D2850021 0002403C
	v_mul_hi_u32 v33, v32, v33                                 // 0000000044A4: D2860021 00024320
	v_add_u32_e32 v32, v32, v33                                // 0000000044AC: 68404320
	v_mul_hi_u32 v32, s71, v32                                 // 0000000044B0: D2860020 00024047
	v_mul_lo_u32 v33, v32, s74                                 // 0000000044B8: D2850021 00009520
	v_sub_u32_e32 v35, s71, v33                                // 0000000044C0: 6A464247
	v_add_u32_e32 v34, 1, v32                                  // 0000000044C4: 68444081
	v_cmp_le_u32_e32 vcc, s74, v35                             // 0000000044C8: 7D96464A
	v_subrev_u32_e32 v33, s74, v35                             // 0000000044CC: 6C42464A
	s_nop 0                                                    // 0000000044D0: BF800000
	v_cndmask_b32_e32 v32, v32, v34, vcc                       // 0000000044D4: 00404520
	v_cndmask_b32_e32 v35, v35, v33, vcc                       // 0000000044D8: 00464323
	v_add_u32_e32 v33, 1, v32                                  // 0000000044DC: 68424081
	v_cmp_le_u32_e32 vcc, s74, v35                             // 0000000044E0: 7D96464A
	s_nop 1                                                    // 0000000044E4: BF800001
	v_cndmask_b32_e32 v35, v32, v33, vcc                       // 0000000044E8: 00464320
	s_nop 3                                                    // 0000000044EC: BF800003
	v_readfirstlane_b32 s77, v35                               // 0000000044F0: 7E9A0523
	s_nop 3                                                    // 0000000044F4: BF800003
	v_mov_b32_e32 v32, s47                                     // 0000000044F8: 7E40022F
	v_mul_f32_e32 v32, s48, v32                                // 0000000044FC: 0A404030
	s_mov_b32 s58, s49                                         // 000000004500: BEBA0031
	s_mov_b32 s59, 0                                           // 000000004504: BEBB0080
	v_readfirstlane_b32 s57, v32                               // 000000004508: 7E720520
	s_mul_i32 s60, s63, 64                                     // 00000000450C: 923CC03F
	s_mov_b32 s67, s60                                         // 000000004510: BEC3003C
	s_cmp_lt_u32 s46, 2                                        // 000000004514: BF0A822E
	s_cselect_b32 s24, s24, s28                                // 000000004518: 85181C18
	s_cselect_b32 s25, s25, s29                                // 00000000451C: 85191D19
	s_cselect_b32 s26, s26, s30                                // 000000004520: 851A1E1A
	s_cselect_b32 s27, s27, s31                                // 000000004524: 851B1F1B
	s_mov_b32 s75, 0                                           // 000000004528: BECB0080
	s_mov_b32 s76, 1                                           // 00000000452C: BECC0081
	s_lshl_b32 s60, s2, 1                                      // 000000004530: 8E3C8102
	s_add_u32 s60, 1, s60                                      // 000000004534: 803C3C81
	s_cmp_ge_i32 s60, s77                                      // 000000004538: BF034D3C
	s_cselect_b32 s76, s76, 2                                  // 00000000453C: 854C824C

0000000000004540 <label_0150>:
	s_mov_b32 s66, 0                                           // 000000004540: BEC20080
	v_mov_b32_e32 v127, 0xff800000                             // 000000004544: 7EFE02FF FF800000
	s_mov_b32 s74, 0                                           // 00000000454C: BECA0080
	s_mul_i32 s68, 4, s5                                       // 000000004550: 92440584
	s_mul_i32 s101, 4, s51                                     // 000000004554: 92653384
	s_mov_b32 s69, 16                                          // 000000004558: BEC50090
	s_mul_i32 s59, 0xc0, s2                                    // 00000000455C: 923B02FF 000000C0
	s_mul_i32 s54, s6, s59                                     // 000000004564: 92363B06
	s_sub_i32 s61, s50, s59                                    // 000000004568: 81BD3B32
	s_mul_i32 s62, s6, s61                                     // 00000000456C: 923E3D06
	s_lshr_b32 s62, s62, 2                                     // 000000004570: 8F3E823E
	s_mov_b32 s14, s62                                         // 000000004574: BE8E003E
	s_add_u32 s12, s54, s95                                    // 000000004578: 800C5F36
	s_addc_u32 s13, 0, s96                                     // 00000000457C: 820D6080
	s_mul_i32 s54, s7, s59                                     // 000000004580: 92363B07
	s_mul_i32 s62, s7, s61                                     // 000000004584: 923E3D07
	s_lshr_b32 s62, s62, 2                                     // 000000004588: 8F3E823E
	s_mov_b32 s18, s62                                         // 00000000458C: BE92003E
	s_add_u32 s16, s54, s97                                    // 000000004590: 80106136
	s_addc_u32 s17, 0, s98                                     // 000000004594: 82116280
	s_mov_b32 s71, s6                                          // 000000004598: BEC70006
	v_and_b32_e32 v32, 3, v0                                   // 00000000459C: 26400083
	v_and_b32_e32 v33, 1, v32                                  // 0000000045A0: 26424081
	v_lshrrev_b32_e32 v34, 1, v32                              // 0000000045A4: 20444081
	v_lshrrev_b32_e32 v32, 5, v0                               // 0000000045A8: 20400085
	v_xor_b32_e32 v34, v34, v32                                // 0000000045AC: 2A444122
	v_lshlrev_b32_e32 v34, 1, v34                              // 0000000045B0: 24444481
	v_add_u32_e32 v33, v34, v33                                // 0000000045B4: 68424322
	v_lshlrev_b32_e32 v33, 4, v33                              // 0000000045B8: 24424284
	v_lshrrev_b32_e32 v32, 2, v0                               // 0000000045BC: 20400082
	v_mul_i32_i24_e32 v32, s71, v32                            // 0000000045C0: 0C404047
	v_add_u32_e32 v1, v32, v33                                 // 0000000045C4: 68024320
	s_mul_i32 s60, s46, 64                                     // 0000000045C8: 923CC02E
	v_add_u32_e32 v1, s60, v1                                  // 0000000045CC: 6802023C
	v_and_b32_e32 v32, 7, v0                                   // 0000000045D0: 26400087
	v_lshrrev_b32_e32 v33, 3, v0                               // 0000000045D4: 20420083
	v_and_b32_e32 v33, 1, v33                                  // 0000000045D8: 26424281
	s_lshr_b32 s60, s46, 1                                     // 0000000045DC: 8F3C812E
	v_xor_b32_e64 v33, v33, s60                                // 0000000045E0: D1150021 00007921
	v_lshlrev_b32_e32 v33, 3, v33                              // 0000000045E8: 24424283
	v_add_u32_e32 v32, v32, v33                                // 0000000045EC: 68404320
	v_lshlrev_b32_e32 v32, 2, v32                              // 0000000045F0: 24404082
	s_mul_i32 s60, s46, 4                                      // 0000000045F4: 923C842E
	v_lshrrev_b32_e32 v33, 4, v0                               // 0000000045F8: 20420084
	v_add_u32_e64 v33, v33, s60                                // 0000000045FC: D1340021 00007921
	v_mul_i32_i24_e32 v33, s71, v33                            // 000000004604: 0C424247
	v_add_u32_e32 v2, v32, v33                                 // 000000004608: 68044320
	s_mov_b32 s60, 0x100                                       // 00000000460C: BEBC00FF 00000100
	v_add_u32_e64 v2, v2, s60                                  // 000000004614: D1340002 00007902
	v_add_u32_e64 v3, v2, 64                                   // 00000000461C: D1340003 00018102
	s_mov_b32 s71, s7                                          // 000000004624: BEC70007
	v_and_b32_e32 v32, 3, v0                                   // 000000004628: 26400083
	v_and_b32_e32 v33, 1, v32                                  // 00000000462C: 26424081
	v_lshrrev_b32_e32 v34, 1, v32                              // 000000004630: 20444081
	v_lshrrev_b32_e32 v32, 5, v0                               // 000000004634: 20400085
	v_xor_b32_e32 v34, v34, v32                                // 000000004638: 2A444122
	v_lshlrev_b32_e32 v34, 1, v34                              // 00000000463C: 24444481
	v_add_u32_e32 v33, v34, v33                                // 000000004640: 68424322
	v_lshlrev_b32_e32 v33, 4, v33                              // 000000004644: 24424284
	v_lshrrev_b32_e32 v32, 2, v0                               // 000000004648: 20400082
	v_mul_i32_i24_e32 v32, s71, v32                            // 00000000464C: 0C404047
	v_add_u32_e32 v4, v32, v33                                 // 000000004650: 68084320
	s_mul_i32 s60, s46, 64                                     // 000000004654: 923CC02E
	v_add_u32_e32 v4, s60, v4                                  // 000000004658: 6808083C
	v_lshrrev_b32_e32 v1, 2, v1                                // 00000000465C: 20020282
	v_lshrrev_b32_e32 v2, 2, v2                                // 000000004660: 20040482
	v_lshrrev_b32_e32 v3, 2, v3                                // 000000004664: 20060682
	;; [unrolled: 1-line block ×3, first 2 shown]
	s_mov_b32 s70, s52                                         // 00000000466C: BEC60034
	v_lshrrev_b32_e32 v32, 3, v0                               // 000000004670: 20400083
	v_mul_i32_i24_e32 v5, s70, v32                             // 000000004674: 0C0A4046
	v_lshrrev_b32_e32 v5, 2, v5                                // 000000004678: 200A0A82
	v_and_b32_e32 v32, 7, v0                                   // 00000000467C: 26400087
	v_lshlrev_b32_e32 v33, 2, v32                              // 000000004680: 24424082
	v_add_u32_e32 v5, v33, v5                                  // 000000004684: 680A0B21
	s_mul_i32 s60, 16, s70                                     // 000000004688: 923C4690
	s_mul_i32 s60, s46, s60                                    // 00000000468C: 923C3C2E
	v_lshlrev_b32_e32 v5, 2, v5                                // 000000004690: 240A0A82
	v_add_u32_e32 v5, s60, v5                                  // 000000004694: 680A0A3C
	s_mul_i32 s60, s52, s59                                    // 000000004698: 923C3B34
	v_add_u32_e32 v5, s60, v5                                  // 00000000469C: 680A0A3C
	s_mov_b32 s70, s53                                         // 0000000046A0: BEC60035
	v_lshrrev_b32_e32 v32, 3, v0                               // 0000000046A4: 20400083
	v_mul_i32_i24_e32 v6, s70, v32                             // 0000000046A8: 0C0C4046
	v_lshrrev_b32_e32 v6, 2, v6                                // 0000000046AC: 200C0C82
	v_and_b32_e32 v32, 7, v0                                   // 0000000046B0: 26400087
	v_lshlrev_b32_e32 v33, 2, v32                              // 0000000046B4: 24424082
	v_add_u32_e32 v6, v33, v6                                  // 0000000046B8: 680C0D21
	s_mul_i32 s60, 16, s70                                     // 0000000046BC: 923C4690
	s_mul_i32 s60, s46, s60                                    // 0000000046C0: 923C3C2E
	v_lshlrev_b32_e32 v6, 2, v6                                // 0000000046C4: 240C0C82
	v_add_u32_e32 v6, s60, v6                                  // 0000000046C8: 680C0C3C
	s_mul_i32 s60, s53, s59                                    // 0000000046CC: 923C3B35
	v_add_u32_e32 v6, s60, v6                                  // 0000000046D0: 680C0C3C
	s_cmp_ge_i32 s59, s49                                      // 0000000046D4: BF03313B
	s_cselect_b32 s59, s49, s59                                // 0000000046D8: 853B3B31
	s_add_u32 s73, 16, s59                                     // 0000000046DC: 80493B90
	s_mul_i32 s65, s59, 4                                      // 0000000046E0: 9241843B
	v_and_b32_e32 v11, 15, v0                                  // 0000000046E4: 2616008F
	v_lshlrev_b32_e32 v11, 2, v11                              // 0000000046E8: 24161682
	v_add_u32_e32 v11, s65, v11                                // 0000000046EC: 68161641
	v_lshrrev_b32_e32 v11, 2, v11                              // 0000000046F0: 20161682
	v_lshrrev_b32_e32 v32, 4, v0                               // 0000000046F4: 20400084
	v_mul_i32_i24_e64 v33, s63, 4                              // 0000000046F8: D1060021 0001083F
	v_mul_i32_i24_e32 v7, v33, v32                             // 000000004700: 0C0E4121
	v_and_b32_e32 v32, 15, v0                                  // 000000004704: 2640008F
	v_add_u32_e32 v7, v32, v7                                  // 000000004708: 680E0F20
	s_mul_i32 s60, s46, 48                                     // 00000000470C: 923CB02E
	v_add_u32_e32 v7, s60, v7                                  // 000000004710: 680E0E3C
	v_lshlrev_b32_e32 v7, 2, v7                                // 000000004714: 240E0E82
	s_mul_i32 s60, s63, 4                                      // 000000004718: 923C843F
	v_add_u32_e32 v8, s60, v7                                  // 00000000471C: 68100E3C
	v_add_u32_e32 v9, s60, v8                                  // 000000004720: 6812103C
	v_add_u32_e32 v10, s60, v9                                 // 000000004724: 6814123C
	s_mul_i32 s60, s63, s65                                    // 000000004728: 923C413F
	v_add_u32_e32 v7, s60, v7                                  // 00000000472C: 680E0E3C
	v_add_u32_e32 v8, s60, v8                                  // 000000004730: 6810103C
	v_add_u32_e32 v9, s60, v9                                  // 000000004734: 6812123C
	v_add_u32_e32 v10, s60, v10                                // 000000004738: 6814143C
	s_mul_i32 s60, 3, s2                                       // 00000000473C: 923C0283
	s_add_u32 s61, s50, 63                                     // 000000004740: 803DBF32
	s_lshr_b32 s61, s61, 6                                     // 000000004744: 8F3D863D
	s_sub_i32 s72, s61, s60                                    // 000000004748: 81C83C3D
	s_cmp_lt_i32 s72, 3                                        // 00000000474C: BF048348
	s_cselect_b32 s72, s72, 3                                  // 000000004750: 85488348
	s_mul_i32 s60, 0xc0, s2                                    // 000000004754: 923C02FF 000000C0
	s_sub_i32 s64, s50, s60                                    // 00000000475C: 81C03C32
	v_lshrrev_b32_e32 v32, 4, v0                               // 000000004760: 20400084
	v_and_b32_e32 v33, 1, v32                                  // 000000004764: 26424081
	v_lshrrev_b32_e32 v34, 1, v32                              // 000000004768: 20444081
	v_and_b32_e32 v32, 15, v0                                  // 00000000476C: 2640008F
	v_lshlrev_b32_e32 v12, 4, v32                              // 000000004770: 24184084
	v_lshrrev_b32_e32 v32, 3, v32                              // 000000004774: 20404083
	v_xor_b32_e32 v32, v32, v34                                // 000000004778: 2A404520
	v_lshlrev_b32_e32 v32, 1, v32                              // 00000000477C: 24404081
	v_add_u32_e32 v32, v33, v32                                // 000000004780: 68404121
	v_lshlrev_b32_e32 v32, 2, v32                              // 000000004784: 24404082
	v_add_u32_e32 v12, v32, v12                                // 000000004788: 68181920
	v_lshlrev_b32_e32 v12, 2, v12                              // 00000000478C: 24181882
	s_mul_i32 s60, s46, 0x1800                                 // 000000004790: 923CFF2E 00001800
	v_add_u32_e32 v17, s60, v12                                // 000000004798: 6822183C
	s_mul_i32 s60, s46, 0x1000                                 // 00000000479C: 923CFF2E 00001000
	v_add_u32_e32 v18, s60, v12                                // 0000000047A4: 6824183C
	v_and_b32_e32 v32, 15, v0                                  // 0000000047A8: 2640008F
	v_and_b32_e32 v33, 3, v32                                  // 0000000047AC: 26424083
	v_lshrrev_b32_e32 v34, 2, v32                              // 0000000047B0: 20444082
	v_lshlrev_b32_e32 v33, 1, v33                              // 0000000047B4: 24424281
	v_lshlrev_b32_e32 v34, 4, v34                              // 0000000047B8: 24444484
	v_add_u32_e32 v13, v33, v34                                // 0000000047BC: 681A4521
	v_lshrrev_b32_e32 v32, 5, v0                               // 0000000047C0: 20400085
	v_mul_i32_i24_e32 v33, 0x600, v32                          // 0000000047C4: 0C4240FF 00000600
	v_mul_i32_i24_e32 v34, 0x80, v32                           // 0000000047CC: 0C4440FF 00000080
	v_add_u32_e32 v19, v33, v13                                // 0000000047D4: 68261B21
	v_add_u32_e32 v13, v34, v13                                // 0000000047D8: 681A1B22
	v_lshrrev_b32_e32 v33, 4, v0                               // 0000000047DC: 20420084
	v_and_b32_e32 v33, 1, v33                                  // 0000000047E0: 26424281
	v_mul_i32_i24_e32 v34, 0x80, v33                           // 0000000047E4: 0C4442FF 00000080
	v_add_u32_e32 v19, v34, v19                                // 0000000047EC: 68262722
	v_xor_b32_e32 v32, v32, v33                                // 0000000047F0: 2A404320
	v_mul_i32_i24_e32 v32, 8, v32                              // 0000000047F4: 0C404088
	v_add_u32_e32 v13, v32, v13                                // 0000000047F8: 681A1B20
	v_mul_i32_i24_e32 v32, 8, v33                              // 0000000047FC: 0C404288
	v_xor_b32_e32 v33, 1, v33                                  // 000000004800: 2A424281
	v_mul_i32_i24_e32 v33, 8, v33                              // 000000004804: 0C424288
	v_add_u32_e32 v20, v33, v19                                // 000000004808: 68282721
	v_add_u32_e32 v19, v32, v19                                // 00000000480C: 68262720
	v_mov_b32_e32 v32, v19                                     // 000000004810: 7E400313
	v_mov_b32_e32 v33, v20                                     // 000000004814: 7E420314
	s_and_b32 s60, 1, s46                                      // 000000004818: 863C2E81
	s_sub_i32 s61, 1, s60                                      // 00000000481C: 81BD3C81
	v_mul_i32_i24_e32 v34, s61, v32                            // 000000004820: 0C44403D
	v_mul_i32_i24_e32 v35, s60, v33                            // 000000004824: 0C46423C
	v_add_u32_e32 v19, v34, v35                                // 000000004828: 68264722
	v_mul_i32_i24_e32 v34, s60, v32                            // 00000000482C: 0C44403C
	v_mul_i32_i24_e32 v35, s61, v33                            // 000000004830: 0C46423D
	v_add_u32_e32 v20, v34, v35                                // 000000004834: 68284722
	s_mul_i32 s61, 0x100, s46                                  // 000000004838: 923D2EFF 00000100
	v_add_u32_e32 v19, s61, v19                                // 000000004840: 6826263D
	s_lshr_b32 s61, s46, 1                                     // 000000004844: 8F3D812E
	s_mul_i32 s62, 0x100, s61                                  // 000000004848: 923E3DFF 00000100
	v_add_u32_e32 v19, s62, v19                                // 000000004850: 6826263E
	v_mov_b32_e32 v21, v19                                     // 000000004854: 7E2A0313
	v_add_u32_e32 v21, 0x100, v21                              // 000000004858: 682A2AFF 00000100
	s_mul_i32 s60, 0x200, s60                                  // 000000004860: 923C3CFF 00000200
	s_mul_i32 s61, 0x300, s61                                  // 000000004868: 923D3DFF 00000300
	v_add_u32_e32 v20, s60, v20                                // 000000004870: 6828283C
	v_add_u32_e32 v20, s61, v20                                // 000000004874: 6828283D
	v_lshlrev_b32_e32 v13, 2, v13                              // 000000004878: 241A1A82
	v_lshlrev_b32_e32 v19, 2, v19                              // 00000000487C: 24262682
	v_lshlrev_b32_e32 v20, 2, v20                              // 000000004880: 24282882
	v_lshlrev_b32_e32 v21, 2, v21                              // 000000004884: 242A2A82
	v_lshrrev_b32_e32 v32, 4, v0                               // 000000004888: 20400084
	v_mul_i32_i24_e32 v16, 4, v32                              // 00000000488C: 0C204084
	v_and_b32_e32 v33, 3, v0                                   // 000000004890: 26420083
	v_add_u32_e32 v16, v33, v16                                // 000000004894: 68202121
	v_lshlrev_b32_e32 v16, 2, v16                              // 000000004898: 24202082
	v_and_b32_e32 v32, 15, v0                                  // 00000000489C: 2640008F
	v_and_b32_e32 v33, 3, v32                                  // 0000000048A0: 26424083
	v_and_b32_e32 v34, 1, v33                                  // 0000000048A4: 26444281
	v_lshlrev_b32_e32 v14, 5, v34                              // 0000000048A8: 241C4485
	v_lshrrev_b32_e32 v33, 1, v33                              // 0000000048AC: 20424281
	v_mul_i32_i24_e32 v33, 0x48, v33                           // 0000000048B0: 0C4242FF 00000048
	v_add_u32_e32 v14, v33, v14                                // 0000000048B8: 681C1D21
	v_lshrrev_b32_e32 v33, 2, v32                              // 0000000048BC: 20424082
	v_lshlrev_b32_e32 v33, 1, v33                              // 0000000048C0: 24424281
	v_add_u32_e32 v14, v33, v14                                // 0000000048C4: 681C1D21
	v_lshrrev_b32_e32 v32, 5, v0                               // 0000000048C8: 20400085
	v_mul_i32_i24_e32 v32, 0x90, v32                           // 0000000048CC: 0C4040FF 00000090
	v_and_b32_e32 v33, 16, v0                                  // 0000000048D4: 26420090
	v_add_u32_e32 v14, v32, v14                                // 0000000048D8: 681C1D20
	v_add_u32_e32 v14, v33, v14                                // 0000000048DC: 681C1D21
	v_lshlrev_b32_e32 v14, 2, v14                              // 0000000048E0: 241C1C82
	v_lshrrev_b32_e32 v32, 5, v0                               // 0000000048E4: 20400085
	v_mul_i32_i24_e32 v15, 0x48, v32                           // 0000000048E8: 0C1E40FF 00000048
	v_and_b32_e32 v32, 31, v0                                  // 0000000048F0: 2640009F
	v_lshlrev_b32_e32 v32, 1, v32                              // 0000000048F4: 24404081
	v_add_u32_e32 v15, v32, v15                                // 0000000048F8: 681E1F20
	s_mul_i32 s60, s46, 0x90                                   // 0000000048FC: 923CFF2E 00000090
	v_add_u32_e32 v15, s60, v15                                // 000000004904: 681E1E3C
	v_lshlrev_b32_e32 v15, 2, v15                              // 000000004908: 241E1E82
	s_mul_i32 s60, s46, 0x400                                  // 00000000490C: 923CFF2E 00000400
	s_add_u32 m0, 0, s60                                       // 000000004914: 807C3C80
	buffer_load_dwordx4 v4, s[16:19], 0 idxen lds              // 000000004918: E05D2000 80040004
	s_add_u32 m0, 0x1000, m0                                   // 000000004920: 807C7CFF 00001000
	s_mul_i32 s60, 4, s7                                       // 000000004928: 923C0784
	v_add_u32_e32 v4, s60, v4                                  // 00000000492C: 6808083C
	buffer_load_dwordx4 v4, s[16:19], 0 idxen lds              // 000000004930: E05D2000 80040004
	s_add_u32 m0, 0x1000, m0                                   // 000000004938: 807C7CFF 00001000
	s_mul_i32 s60, 4, s7                                       // 000000004940: 923C0784
	v_add_u32_e32 v4, s60, v4                                  // 000000004944: 6808083C
	buffer_load_dwordx4 v4, s[16:19], 0 idxen lds              // 000000004948: E05D2000 80040004
	s_add_u32 m0, 0x1000, m0                                   // 000000004950: 807C7CFF 00001000
	s_mul_i32 s60, 4, s7                                       // 000000004958: 923C0784
	v_add_u32_e32 v4, s60, v4                                  // 00000000495C: 6808083C
	buffer_load_dwordx4 v4, s[16:19], 0 idxen lds              // 000000004960: E05D2000 80040004
	s_add_u32 m0, 0x1000, m0                                   // 000000004968: 807C7CFF 00001000
	s_mul_i32 s60, 4, s7                                       // 000000004970: 923C0784
	v_add_u32_e32 v4, s60, v4                                  // 000000004974: 6808083C
	buffer_load_dwordx4 v4, s[16:19], 0 idxen lds              // 000000004978: E05D2000 80040004
	s_add_u32 m0, 0x1000, m0                                   // 000000004980: 807C7CFF 00001000
	s_mul_i32 s60, 4, s7                                       // 000000004988: 923C0784
	v_add_u32_e32 v4, s60, v4                                  // 00000000498C: 6808083C
	buffer_load_dwordx4 v4, s[16:19], 0 idxen lds              // 000000004990: E05D2000 80040004
	s_add_u32 m0, 0x1000, m0                                   // 000000004998: 807C7CFF 00001000
	s_mul_i32 s60, 4, s7                                       // 0000000049A0: 923C0784
	v_add_u32_e32 v4, s60, v4                                  // 0000000049A4: 6808083C
	buffer_load_dwordx4 v4, s[16:19], 0 idxen lds              // 0000000049A8: E05D2000 80040004
	s_add_u32 m0, 0x1000, m0                                   // 0000000049B0: 807C7CFF 00001000
	s_mul_i32 s60, 4, s7                                       // 0000000049B8: 923C0784
	v_add_u32_e32 v4, s60, v4                                  // 0000000049BC: 6808083C
	buffer_load_dwordx4 v4, s[16:19], 0 idxen lds              // 0000000049C0: E05D2000 80040004
	s_add_u32 m0, 0x1000, m0                                   // 0000000049C8: 807C7CFF 00001000
	s_mul_i32 s60, 4, s7                                       // 0000000049D0: 923C0784
	v_add_u32_e32 v4, s60, v4                                  // 0000000049D4: 6808083C
	buffer_load_dwordx4 v4, s[16:19], 0 idxen lds              // 0000000049D8: E05D2000 80040004
	s_add_u32 m0, 0x1000, m0                                   // 0000000049E0: 807C7CFF 00001000
	s_mul_i32 s60, 4, s7                                       // 0000000049E8: 923C0784
	v_add_u32_e32 v4, s60, v4                                  // 0000000049EC: 6808083C
	buffer_load_dwordx4 v4, s[16:19], 0 idxen lds              // 0000000049F0: E05D2000 80040004
	s_add_u32 m0, 0x1000, m0                                   // 0000000049F8: 807C7CFF 00001000
	s_mul_i32 s60, 4, s7                                       // 000000004A00: 923C0784
	v_add_u32_e32 v4, s60, v4                                  // 000000004A04: 6808083C
	buffer_load_dwordx4 v4, s[16:19], 0 idxen lds              // 000000004A08: E05D2000 80040004
	s_add_u32 m0, 0x1000, m0                                   // 000000004A10: 807C7CFF 00001000
	s_mul_i32 s60, 4, s7                                       // 000000004A18: 923C0784
	v_add_u32_e32 v4, s60, v4                                  // 000000004A1C: 6808083C
	buffer_load_dwordx4 v4, s[16:19], 0 idxen lds              // 000000004A20: E05D2000 80040004
	s_add_u32 m0, 0x1000, m0                                   // 000000004A28: 807C7CFF 00001000
	s_mul_i32 s60, 4, s7                                       // 000000004A30: 923C0784
	v_add_u32_e32 v4, s60, v4                                  // 000000004A34: 6808083C
	s_mul_i32 s60, s46, 0x400                                  // 000000004A38: 923CFF2E 00000400
	s_mul_i32 s61, s46, 0x100                                  // 000000004A40: 923DFF2E 00000100
	s_add_u32 s78, 0xc000, s60                                 // 000000004A48: 804E3CFF 0000C000
	s_add_u32 s79, 0xc000, s61                                 // 000000004A50: 804F3DFF 0000C000
	s_add_u32 s79, 0x1000, s79                                 // 000000004A58: 804F4FFF 00001000
	s_add_u32 s80, 0x400, s79                                  // 000000004A60: 80504FFF 00000400
	s_waitcnt vmcnt(8) lgkmcnt(0)                              // 000000004A68: BF8C0078
	s_barrier                                                  // 000000004A6C: BF8A0000
	ds_read_b128 a[64:67], v18                                 // 000000004A70: DBFE0000 40000012
	ds_read_b128 a[68:71], v18 offset:1024                     // 000000004A78: DBFE0400 44000012
	ds_read_b128 a[72:75], v18 offset:2048                     // 000000004A80: DBFE0800 48000012
	ds_read_b128 a[76:79], v18 offset:3072                     // 000000004A88: DBFE0C00 4C000012
	s_waitcnt lgkmcnt(0)                                       // 000000004A90: BF8CC07F
	s_barrier                                                  // 000000004A94: BF8A0000
	s_mov_b32 m0, s78                                          // 000000004A98: BEFC004E
	buffer_load_dwordx4 v1, s[12:15], 0 idxen lds              // 000000004A9C: E05D2000 80030001
	s_mov_b32 m0, s79                                          // 000000004AA4: BEFC004F
	buffer_load_dword v2, s[12:15], 0 idxen lds                // 000000004AA8: E0512000 80030002
	s_mov_b32 m0, s80                                          // 000000004AB0: BEFC0050
	buffer_load_dword v3, s[12:15], 0 idxen lds                // 000000004AB4: E0512000 80030003
	s_add_u32 s78, 0x1800, s78                                 // 000000004ABC: 804E4EFF 00001800
	s_add_u32 s79, 0x1800, s79                                 // 000000004AC4: 804F4FFF 00001800
	s_add_u32 s80, 0x1800, s80                                 // 000000004ACC: 805050FF 00001800
	s_mul_i32 s60, 4, s6                                       // 000000004AD4: 923C0684
	v_add_u32_e32 v1, s60, v1                                  // 000000004AD8: 6802023C
	v_add_u32_e32 v2, s60, v2                                  // 000000004ADC: 6804043C
	v_add_u32_e32 v3, s60, v3                                  // 000000004AE0: 6806063C
	s_mov_b32 m0, s78                                          // 000000004AE4: BEFC004E
	buffer_load_dwordx4 v1, s[12:15], 0 idxen lds              // 000000004AE8: E05D2000 80030001
	s_mov_b32 m0, s79                                          // 000000004AF0: BEFC004F
	buffer_load_dword v2, s[12:15], 0 idxen lds                // 000000004AF4: E0512000 80030002
	s_mov_b32 m0, s80                                          // 000000004AFC: BEFC0050
	buffer_load_dword v3, s[12:15], 0 idxen lds                // 000000004B00: E0512000 80030003
	s_add_u32 s78, 0x1800, s78                                 // 000000004B08: 804E4EFF 00001800
	s_add_u32 s79, 0x1800, s79                                 // 000000004B10: 804F4FFF 00001800
	s_add_u32 s80, 0x1800, s80                                 // 000000004B18: 805050FF 00001800
	s_mul_i32 s60, 4, s6                                       // 000000004B20: 923C0684
	v_add_u32_e32 v1, s60, v1                                  // 000000004B24: 6802023C
	v_add_u32_e32 v2, s60, v2                                  // 000000004B28: 6804043C
	v_add_u32_e32 v3, s60, v3                                  // 000000004B2C: 6806063C
	s_mov_b32 m0, s78                                          // 000000004B30: BEFC004E
	buffer_load_dwordx4 v1, s[12:15], 0 idxen lds              // 000000004B34: E05D2000 80030001
	s_mov_b32 m0, s79                                          // 000000004B3C: BEFC004F
	buffer_load_dword v2, s[12:15], 0 idxen lds                // 000000004B40: E0512000 80030002
	s_mov_b32 m0, s80                                          // 000000004B48: BEFC0050
	buffer_load_dword v3, s[12:15], 0 idxen lds                // 000000004B4C: E0512000 80030003
	s_add_u32 s78, 0x1800, s78                                 // 000000004B54: 804E4EFF 00001800
	s_add_u32 s79, 0x1800, s79                                 // 000000004B5C: 804F4FFF 00001800
	s_add_u32 s80, 0x1800, s80                                 // 000000004B64: 805050FF 00001800
	s_mul_i32 s60, 4, s6                                       // 000000004B6C: 923C0684
	v_add_u32_e32 v1, s60, v1                                  // 000000004B70: 6802023C
	v_add_u32_e32 v2, s60, v2                                  // 000000004B74: 6804043C
	v_add_u32_e32 v3, s60, v3                                  // 000000004B78: 6806063C
	s_mov_b32 m0, s78                                          // 000000004B7C: BEFC004E
	buffer_load_dwordx4 v1, s[12:15], 0 idxen lds              // 000000004B80: E05D2000 80030001
	s_mov_b32 m0, s79                                          // 000000004B88: BEFC004F
	buffer_load_dword v2, s[12:15], 0 idxen lds                // 000000004B8C: E0512000 80030002
	s_mov_b32 m0, s80                                          // 000000004B94: BEFC0050
	buffer_load_dword v3, s[12:15], 0 idxen lds                // 000000004B98: E0512000 80030003
	s_add_u32 s78, 0x1800, s78                                 // 000000004BA0: 804E4EFF 00001800
	s_add_u32 s79, 0x1800, s79                                 // 000000004BA8: 804F4FFF 00001800
	s_add_u32 s80, 0x1800, s80                                 // 000000004BB0: 805050FF 00001800
	s_mul_i32 s60, 4, s6                                       // 000000004BB8: 923C0684
	v_add_u32_e32 v1, s60, v1                                  // 000000004BBC: 6802023C
	v_add_u32_e32 v2, s60, v2                                  // 000000004BC0: 6804043C
	v_add_u32_e32 v3, s60, v3                                  // 000000004BC4: 6806063C
	s_waitcnt vmcnt(16) lgkmcnt(0)                             // 000000004BC8: BF8C4070
	s_barrier                                                  // 000000004BCC: BF8A0000
	ds_read_b128 a[80:83], v18 offset:16384                    // 000000004BD0: DBFE4000 50000012
	ds_read_b128 a[84:87], v18 offset:17408                    // 000000004BD8: DBFE4400 54000012
	ds_read_b128 a[88:91], v18 offset:18432                    // 000000004BE0: DBFE4800 58000012
	ds_read_b128 a[92:95], v18 offset:19456                    // 000000004BE8: DBFE4C00 5C000012
	s_waitcnt lgkmcnt(0)                                       // 000000004BF0: BF8CC07F
	s_barrier                                                  // 000000004BF4: BF8A0000
	s_mov_b32 m0, s78                                          // 000000004BF8: BEFC004E
	buffer_load_dwordx4 v1, s[12:15], 0 idxen lds              // 000000004BFC: E05D2000 80030001
	s_mov_b32 m0, s79                                          // 000000004C04: BEFC004F
	buffer_load_dword v2, s[12:15], 0 idxen lds                // 000000004C08: E0512000 80030002
	s_mov_b32 m0, s80                                          // 000000004C10: BEFC0050
	buffer_load_dword v3, s[12:15], 0 idxen lds                // 000000004C14: E0512000 80030003
	s_add_u32 s78, 0x1800, s78                                 // 000000004C1C: 804E4EFF 00001800
	s_add_u32 s79, 0x1800, s79                                 // 000000004C24: 804F4FFF 00001800
	s_add_u32 s80, 0x1800, s80                                 // 000000004C2C: 805050FF 00001800
	s_mul_i32 s60, 4, s6                                       // 000000004C34: 923C0684
	v_add_u32_e32 v1, s60, v1                                  // 000000004C38: 6802023C
	v_add_u32_e32 v2, s60, v2                                  // 000000004C3C: 6804043C
	v_add_u32_e32 v3, s60, v3                                  // 000000004C40: 6806063C
	s_mov_b32 m0, s78                                          // 000000004C44: BEFC004E
	buffer_load_dwordx4 v1, s[12:15], 0 idxen lds              // 000000004C48: E05D2000 80030001
	s_mov_b32 m0, s79                                          // 000000004C50: BEFC004F
	buffer_load_dword v2, s[12:15], 0 idxen lds                // 000000004C54: E0512000 80030002
	s_mov_b32 m0, s80                                          // 000000004C5C: BEFC0050
	buffer_load_dword v3, s[12:15], 0 idxen lds                // 000000004C60: E0512000 80030003
	s_add_u32 s78, 0x1800, s78                                 // 000000004C68: 804E4EFF 00001800
	s_add_u32 s79, 0x1800, s79                                 // 000000004C70: 804F4FFF 00001800
	s_add_u32 s80, 0x1800, s80                                 // 000000004C78: 805050FF 00001800
	s_mul_i32 s60, 4, s6                                       // 000000004C80: 923C0684
	v_add_u32_e32 v1, s60, v1                                  // 000000004C84: 6802023C
	v_add_u32_e32 v2, s60, v2                                  // 000000004C88: 6804043C
	v_add_u32_e32 v3, s60, v3                                  // 000000004C8C: 6806063C
	s_mov_b32 m0, s78                                          // 000000004C90: BEFC004E
	buffer_load_dwordx4 v1, s[12:15], 0 idxen lds              // 000000004C94: E05D2000 80030001
	s_mov_b32 m0, s79                                          // 000000004C9C: BEFC004F
	buffer_load_dword v2, s[12:15], 0 idxen lds                // 000000004CA0: E0512000 80030002
	s_mov_b32 m0, s80                                          // 000000004CA8: BEFC0050
	buffer_load_dword v3, s[12:15], 0 idxen lds                // 000000004CAC: E0512000 80030003
	s_add_u32 s78, 0x1800, s78                                 // 000000004CB4: 804E4EFF 00001800
	s_add_u32 s79, 0x1800, s79                                 // 000000004CBC: 804F4FFF 00001800
	s_add_u32 s80, 0x1800, s80                                 // 000000004CC4: 805050FF 00001800
	s_mul_i32 s60, 4, s6                                       // 000000004CCC: 923C0684
	v_add_u32_e32 v1, s60, v1                                  // 000000004CD0: 6802023C
	v_add_u32_e32 v2, s60, v2                                  // 000000004CD4: 6804043C
	v_add_u32_e32 v3, s60, v3                                  // 000000004CD8: 6806063C
	s_mov_b32 m0, s78                                          // 000000004CDC: BEFC004E
	buffer_load_dwordx4 v1, s[12:15], 0 idxen lds              // 000000004CE0: E05D2000 80030001
	s_mov_b32 m0, s79                                          // 000000004CE8: BEFC004F
	buffer_load_dword v2, s[12:15], 0 idxen lds                // 000000004CEC: E0512000 80030002
	s_mov_b32 m0, s80                                          // 000000004CF4: BEFC0050
	buffer_load_dword v3, s[12:15], 0 idxen lds                // 000000004CF8: E0512000 80030003
	s_add_u32 s78, 0x1800, s78                                 // 000000004D00: 804E4EFF 00001800
	s_add_u32 s79, 0x1800, s79                                 // 000000004D08: 804F4FFF 00001800
	s_add_u32 s80, 0x1800, s80                                 // 000000004D10: 805050FF 00001800
	s_mul_i32 s60, 4, s6                                       // 000000004D18: 923C0684
	v_add_u32_e32 v1, s60, v1                                  // 000000004D1C: 6802023C
	v_add_u32_e32 v2, s60, v2                                  // 000000004D20: 6804043C
	v_add_u32_e32 v3, s60, v3                                  // 000000004D24: 6806063C
	s_waitcnt vmcnt(24) lgkmcnt(0)                             // 000000004D28: BF8C4078
	s_barrier                                                  // 000000004D2C: BF8A0000
	ds_read_b128 a[96:99], v18 offset:32768                    // 000000004D30: DBFE8000 60000012
	ds_read_b128 a[100:103], v18 offset:33792                  // 000000004D38: DBFE8400 64000012
	ds_read_b128 a[104:107], v18 offset:34816                  // 000000004D40: DBFE8800 68000012
	ds_read_b128 a[108:111], v18 offset:35840                  // 000000004D48: DBFE8C00 6C000012
	s_waitcnt lgkmcnt(0)                                       // 000000004D50: BF8CC07F
	s_barrier                                                  // 000000004D54: BF8A0000
	s_mov_b32 m0, s78                                          // 000000004D58: BEFC004E
	buffer_load_dwordx4 v1, s[12:15], 0 idxen lds              // 000000004D5C: E05D2000 80030001
	s_mov_b32 m0, s79                                          // 000000004D64: BEFC004F
	buffer_load_dword v2, s[12:15], 0 idxen lds                // 000000004D68: E0512000 80030002
	s_mov_b32 m0, s80                                          // 000000004D70: BEFC0050
	buffer_load_dword v3, s[12:15], 0 idxen lds                // 000000004D74: E0512000 80030003
	s_add_u32 s78, 0x1800, s78                                 // 000000004D7C: 804E4EFF 00001800
	s_add_u32 s79, 0x1800, s79                                 // 000000004D84: 804F4FFF 00001800
	s_add_u32 s80, 0x1800, s80                                 // 000000004D8C: 805050FF 00001800
	s_mul_i32 s60, 4, s6                                       // 000000004D94: 923C0684
	v_add_u32_e32 v1, s60, v1                                  // 000000004D98: 6802023C
	v_add_u32_e32 v2, s60, v2                                  // 000000004D9C: 6804043C
	v_add_u32_e32 v3, s60, v3                                  // 000000004DA0: 6806063C
	s_mov_b32 m0, s78                                          // 000000004DA4: BEFC004E
	buffer_load_dwordx4 v1, s[12:15], 0 idxen lds              // 000000004DA8: E05D2000 80030001
	s_mov_b32 m0, s79                                          // 000000004DB0: BEFC004F
	buffer_load_dword v2, s[12:15], 0 idxen lds                // 000000004DB4: E0512000 80030002
	s_mov_b32 m0, s80                                          // 000000004DBC: BEFC0050
	buffer_load_dword v3, s[12:15], 0 idxen lds                // 000000004DC0: E0512000 80030003
	s_add_u32 s78, 0x1800, s78                                 // 000000004DC8: 804E4EFF 00001800
	s_add_u32 s79, 0x1800, s79                                 // 000000004DD0: 804F4FFF 00001800
	s_add_u32 s80, 0x1800, s80                                 // 000000004DD8: 805050FF 00001800
	s_mul_i32 s60, 4, s6                                       // 000000004DE0: 923C0684
	v_add_u32_e32 v1, s60, v1                                  // 000000004DE4: 6802023C
	v_add_u32_e32 v2, s60, v2                                  // 000000004DE8: 6804043C
	v_add_u32_e32 v3, s60, v3                                  // 000000004DEC: 6806063C
	s_mov_b32 m0, s78                                          // 000000004DF0: BEFC004E
	buffer_load_dwordx4 v1, s[12:15], 0 idxen lds              // 000000004DF4: E05D2000 80030001
	s_mov_b32 m0, s79                                          // 000000004DFC: BEFC004F
	buffer_load_dword v2, s[12:15], 0 idxen lds                // 000000004E00: E0512000 80030002
	s_mov_b32 m0, s80                                          // 000000004E08: BEFC0050
	buffer_load_dword v3, s[12:15], 0 idxen lds                // 000000004E0C: E0512000 80030003
	s_add_u32 s78, 0x1800, s78                                 // 000000004E14: 804E4EFF 00001800
	s_add_u32 s79, 0x1800, s79                                 // 000000004E1C: 804F4FFF 00001800
	s_add_u32 s80, 0x1800, s80                                 // 000000004E24: 805050FF 00001800
	s_mul_i32 s60, 4, s6                                       // 000000004E2C: 923C0684
	v_add_u32_e32 v1, s60, v1                                  // 000000004E30: 6802023C
	v_add_u32_e32 v2, s60, v2                                  // 000000004E34: 6804043C
	v_add_u32_e32 v3, s60, v3                                  // 000000004E38: 6806063C
	s_mov_b32 m0, s78                                          // 000000004E3C: BEFC004E
	buffer_load_dwordx4 v1, s[12:15], 0 idxen lds              // 000000004E40: E05D2000 80030001
	s_mov_b32 m0, s79                                          // 000000004E48: BEFC004F
	buffer_load_dword v2, s[12:15], 0 idxen lds                // 000000004E4C: E0512000 80030002
	s_mov_b32 m0, s80                                          // 000000004E54: BEFC0050
	buffer_load_dword v3, s[12:15], 0 idxen lds                // 000000004E58: E0512000 80030003
	s_add_u32 s78, 0x1800, s78                                 // 000000004E60: 804E4EFF 00001800
	s_add_u32 s79, 0x1800, s79                                 // 000000004E68: 804F4FFF 00001800
	s_add_u32 s80, 0x1800, s80                                 // 000000004E70: 805050FF 00001800
	s_mul_i32 s60, 4, s6                                       // 000000004E78: 923C0684
	v_add_u32_e32 v1, s60, v1                                  // 000000004E7C: 6802023C
	v_add_u32_e32 v2, s60, v2                                  // 000000004E80: 6804043C
	v_add_u32_e32 v3, s60, v3                                  // 000000004E84: 6806063C
	s_lshr_b32 s60, s46, 1                                     // 000000004E88: 8F3C812E
	s_lshl_b32 s60, s60, 8                                     // 000000004E8C: 8E3C883C
	s_add_u32 s78, 0x9300, s60                                 // 000000004E90: 804E3CFF 00009300
	s_add_u32 s79, 0x200, s78                                  // 000000004E98: 804F4EFF 00000200
	s_add_u32 s80, 0x200, s79                                  // 000000004EA0: 80504FFF 00000200
	s_mul_i32 s60, s46, 0x400                                  // 000000004EA8: 923CFF2E 00000400
	s_add_u32 s90, 0x4800, s60                                 // 000000004EB0: 805A3CFF 00004800
	s_add_u32 s91, 0x1000, s90                                 // 000000004EB8: 805B5AFF 00001000
	s_add_u32 s92, 0x1000, s91                                 // 000000004EC0: 805C5BFF 00001000
	s_mul_i32 s61, s46, 0x100                                  // 000000004EC8: 923DFF2E 00000100
	s_add_u32 s81, 0, s60                                      // 000000004ED0: 80513C80
	s_add_u32 s82, 0, s61                                      // 000000004ED4: 80523D80
	s_add_u32 s82, 0x1000, s82                                 // 000000004ED8: 805252FF 00001000
	s_add_u32 s83, 0x400, s82                                  // 000000004EE0: 805352FF 00000400
	s_add_u32 s84, 0x1800, s81                                 // 000000004EE8: 805451FF 00001800
	s_add_u32 s85, 0x1800, s82                                 // 000000004EF0: 805552FF 00001800
	s_add_u32 s86, 0x1800, s83                                 // 000000004EF8: 805653FF 00001800
	s_add_u32 s87, 0x1800, s84                                 // 000000004F00: 805754FF 00001800
	s_add_u32 s88, 0x1800, s85                                 // 000000004F08: 805855FF 00001800
	s_add_u32 s89, 0x1800, s86                                 // 000000004F10: 805956FF 00001800
	v_add_u32_e32 v17, 0xc000, v17                             // 000000004F18: 682222FF 0000C000
	v_add_u32_e32 v19, 0xc000, v19                             // 000000004F20: 682626FF 0000C000
	v_add_u32_e32 v20, 0xc000, v20                             // 000000004F28: 682828FF 0000C000
	v_add_u32_e32 v21, 0xc000, v21                             // 000000004F30: 682A2AFF 0000C000
	s_mov_b32 s71, s5                                          // 000000004F38: BEC70005
	v_and_b32_e32 v32, 3, v0                                   // 000000004F3C: 26400083
	v_and_b32_e32 v33, 1, v32                                  // 000000004F40: 26424081
	v_lshrrev_b32_e32 v34, 1, v32                              // 000000004F44: 20444081
	v_lshrrev_b32_e32 v32, 5, v0                               // 000000004F48: 20400085
	v_xor_b32_e32 v34, v34, v32                                // 000000004F4C: 2A444122
	v_lshlrev_b32_e32 v34, 1, v34                              // 000000004F50: 24444481
	v_add_u32_e32 v33, v34, v33                                // 000000004F54: 68424322
	v_lshlrev_b32_e32 v33, 4, v33                              // 000000004F58: 24424284
	v_lshrrev_b32_e32 v32, 2, v0                               // 000000004F5C: 20400082
	v_mul_i32_i24_e32 v32, s71, v32                            // 000000004F60: 0C404047
	v_add_u32_e32 v1, v32, v33                                 // 000000004F64: 68024320
	s_mul_i32 s60, s46, 64                                     // 000000004F68: 923CC02E
	v_add_u32_e32 v1, s60, v1                                  // 000000004F6C: 6802023C
	v_and_b32_e32 v32, 7, v0                                   // 000000004F70: 26400087
	v_lshrrev_b32_e32 v33, 3, v0                               // 000000004F74: 20420083
	v_and_b32_e32 v33, 1, v33                                  // 000000004F78: 26424281
	s_lshr_b32 s60, s46, 1                                     // 000000004F7C: 8F3C812E
	v_xor_b32_e64 v33, v33, s60                                // 000000004F80: D1150021 00007921
	v_lshlrev_b32_e32 v33, 3, v33                              // 000000004F88: 24424283
	v_add_u32_e32 v32, v32, v33                                // 000000004F8C: 68404320
	v_lshlrev_b32_e32 v32, 2, v32                              // 000000004F90: 24404082
	s_mul_i32 s60, s46, 4                                      // 000000004F94: 923C842E
	v_lshrrev_b32_e32 v33, 4, v0                               // 000000004F98: 20420084
	v_add_u32_e64 v33, v33, s60                                // 000000004F9C: D1340021 00007921
	v_mul_i32_i24_e32 v33, s71, v33                            // 000000004FA4: 0C424247
	v_add_u32_e32 v2, v32, v33                                 // 000000004FA8: 68044320
	s_mov_b32 s60, 0x100                                       // 000000004FAC: BEBC00FF 00000100
	v_add_u32_e64 v2, v2, s60                                  // 000000004FB4: D1340002 00007902
	v_add_u32_e64 v3, v2, 64                                   // 000000004FBC: D1340003 00018102
	s_mov_b32 s71, s51                                         // 000000004FC4: BEC70033
	v_and_b32_e32 v32, 3, v0                                   // 000000004FC8: 26400083
	v_and_b32_e32 v33, 1, v32                                  // 000000004FCC: 26424081
	v_lshrrev_b32_e32 v34, 1, v32                              // 000000004FD0: 20444081
	v_lshrrev_b32_e32 v32, 5, v0                               // 000000004FD4: 20400085
	v_xor_b32_e32 v34, v34, v32                                // 000000004FD8: 2A444122
	v_lshlrev_b32_e32 v34, 1, v34                              // 000000004FDC: 24444481
	v_add_u32_e32 v33, v34, v33                                // 000000004FE0: 68424322
	v_lshlrev_b32_e32 v33, 4, v33                              // 000000004FE4: 24424284
	v_lshrrev_b32_e32 v32, 2, v0                               // 000000004FE8: 20400082
	v_mul_i32_i24_e32 v32, s71, v32                            // 000000004FEC: 0C404047
	v_add_u32_e32 v4, v32, v33                                 // 000000004FF0: 68084320
	s_mul_i32 s60, s46, 64                                     // 000000004FF4: 923CC02E
	v_add_u32_e32 v4, s60, v4                                  // 000000004FF8: 6808083C
	s_mul_i32 s60, s5, s59                                     // 000000004FFC: 923C3B05
	v_add_u32_e32 v1, s60, v1                                  // 000000005000: 6802023C
	v_add_u32_e32 v2, s60, v2                                  // 000000005004: 6804043C
	v_add_u32_e32 v3, s60, v3                                  // 000000005008: 6806063C
	s_mul_i32 s60, s51, s59                                    // 00000000500C: 923C3B33
	v_add_u32_e32 v4, s60, v4                                  // 000000005010: 6808083C
	v_lshrrev_b32_e32 v1, 2, v1                                // 000000005014: 20020282
	v_lshrrev_b32_e32 v2, 2, v2                                // 000000005018: 20040482
	v_lshrrev_b32_e32 v3, 2, v3                                // 00000000501C: 20060682
	v_lshrrev_b32_e32 v4, 2, v4                                // 000000005020: 20080882
	s_mov_b32 m0, s81                                          // 000000005024: BEFC0051
	buffer_load_dwordx4 v1, s[8:11], 0 idxen lds               // 000000005028: E05D2000 80020001
	s_mov_b32 m0, s82                                          // 000000005030: BEFC0052
	buffer_load_dword v2, s[8:11], 0 idxen lds                 // 000000005034: E0512000 80020002
	s_mov_b32 m0, s83                                          // 00000000503C: BEFC0053
	buffer_load_dword v3, s[8:11], 0 idxen lds                 // 000000005040: E0512000 80020003
	s_mov_b32 m0, s90                                          // 000000005048: BEFC005A
	buffer_load_dwordx4 v4, s[20:23], 0 idxen lds              // 00000000504C: E05D2000 80050004
	s_mov_b32 m0, s78                                          // 000000005054: BEFC004E
	buffer_load_dword v11, s[24:27], 0 idxen lds               // 000000005058: E0512000 8006000B
	v_add_u32_e32 v1, s68, v1                                  // 000000005060: 68020244
	v_add_u32_e32 v2, s68, v2                                  // 000000005064: 68040444
	;; [unrolled: 1-line block ×3, first 2 shown]
	v_add_u32_e32 v4, s101, v4                                 // 00000000506C: 68080865
	v_add_u32_e32 v11, s69, v11                                // 000000005070: 68161645
	s_mov_b32 m0, s84                                          // 000000005074: BEFC0054
	buffer_load_dwordx4 v1, s[8:11], 0 idxen lds               // 000000005078: E05D2000 80020001
	s_mov_b32 m0, s85                                          // 000000005080: BEFC0055
	buffer_load_dword v2, s[8:11], 0 idxen lds                 // 000000005084: E0512000 80020002
	s_mov_b32 m0, s86                                          // 00000000508C: BEFC0056
	buffer_load_dword v3, s[8:11], 0 idxen lds                 // 000000005090: E0512000 80020003
	s_mov_b32 m0, s91                                          // 000000005098: BEFC005B
	buffer_load_dwordx4 v4, s[20:23], 0 idxen lds              // 00000000509C: E05D2000 80050004
	s_mov_b32 m0, s79                                          // 0000000050A4: BEFC004F
	buffer_load_dword v11, s[24:27], 0 idxen lds               // 0000000050A8: E0512000 8006000B
	v_add_u32_e32 v1, s68, v1                                  // 0000000050B0: 68020244
	v_add_u32_e32 v2, s68, v2                                  // 0000000050B4: 68040444
	v_add_u32_e32 v3, s68, v3                                  // 0000000050B8: 68060644
	v_add_u32_e32 v4, s101, v4                                 // 0000000050BC: 68080865
	v_add_u32_e32 v11, s69, v11                                // 0000000050C0: 68161645
	s_waitcnt vmcnt(5) lgkmcnt(0)                              // 0000000050C4: BF8C0075
	s_barrier                                                  // 0000000050C8: BF8A0000
	ds_read_b128 v[224:227], v12                               // 0000000050CC: D9FE0000 E000000C
	ds_read_b128 v[228:231], v12 offset:1024                   // 0000000050D4: D9FE0400 E400000C
	ds_read_b128 v[232:235], v12 offset:2048                   // 0000000050DC: D9FE0800 E800000C
	ds_read_b128 v[236:239], v12 offset:3072                   // 0000000050E4: D9FE0C00 EC00000C
	ds_read_b128 v[240:243], v12 offset:4096                   // 0000000050EC: D9FE1000 F000000C
	ds_read_b128 v[244:247], v12 offset:5120                   // 0000000050F4: D9FE1400 F400000C
	ds_read_b32 v104, v16 offset:37632                         // 0000000050FC: D86C9300 68000010
	ds_read_b32 v126, v16 offset:37888                         // 000000005104: D86C9400 7E000010
	ds_read_b128 a[0:3], v17                                   // 00000000510C: DBFE0000 00000011
	ds_read_b128 a[4:7], v17 offset:1024                       // 000000005114: DBFE0400 04000011
	ds_read_b128 a[8:11], v17 offset:2048                      // 00000000511C: DBFE0800 08000011
	ds_read_b128 a[12:15], v17 offset:3072                     // 000000005124: DBFE0C00 0C000011
	ds_read_b128 a[16:19], v17 offset:4096                     // 00000000512C: DBFE1000 10000011
	ds_read_b128 a[20:23], v17 offset:5120                     // 000000005134: DBFE1400 14000011
	ds_read_b128 a[24:27], v17 offset:24576                    // 00000000513C: DBFE6000 18000011
	ds_read_b128 a[28:31], v17 offset:25600                    // 000000005144: DBFE6400 1C000011
	ds_read_b128 a[32:35], v17 offset:26624                    // 00000000514C: DBFE6800 20000011
	ds_read_b128 a[36:39], v17 offset:27648                    // 000000005154: DBFE6C00 24000011
	ds_read_b128 a[40:43], v17 offset:28672                    // 00000000515C: DBFE7000 28000011
	ds_read_b128 a[44:47], v17 offset:29696                    // 000000005164: DBFE7400 2C000011
	v_accvgpr_write_b32 a112, 0                                // 00000000516C: D3D94070 18000080
	v_accvgpr_write_b32 a113, 0                                // 000000005174: D3D94071 18000080
	v_accvgpr_write_b32 a114, 0                                // 00000000517C: D3D94072 18000080
	v_accvgpr_write_b32 a115, 0                                // 000000005184: D3D94073 18000080
	v_accvgpr_write_b32 a116, 0                                // 00000000518C: D3D94074 18000080
	v_accvgpr_write_b32 a117, 0                                // 000000005194: D3D94075 18000080
	v_accvgpr_write_b32 a118, 0                                // 00000000519C: D3D94076 18000080
	v_accvgpr_write_b32 a119, 0                                // 0000000051A4: D3D94077 18000080
	v_accvgpr_write_b32 a120, 0                                // 0000000051AC: D3D94078 18000080
	v_accvgpr_write_b32 a121, 0                                // 0000000051B4: D3D94079 18000080
	v_accvgpr_write_b32 a122, 0                                // 0000000051BC: D3D9407A 18000080
	v_accvgpr_write_b32 a123, 0                                // 0000000051C4: D3D9407B 18000080
	v_accvgpr_write_b32 a124, 0                                // 0000000051CC: D3D9407C 18000080
	v_accvgpr_write_b32 a125, 0                                // 0000000051D4: D3D9407D 18000080
	v_accvgpr_write_b32 a126, 0                                // 0000000051DC: D3D9407E 18000080
	v_accvgpr_write_b32 a127, 0                                // 0000000051E4: D3D9407F 18000080
	v_accvgpr_write_b32 a128, 0                                // 0000000051EC: D3D94080 18000080
	v_accvgpr_write_b32 a129, 0                                // 0000000051F4: D3D94081 18000080
	v_accvgpr_write_b32 a130, 0                                // 0000000051FC: D3D94082 18000080
	v_accvgpr_write_b32 a131, 0                                // 000000005204: D3D94083 18000080
	v_accvgpr_write_b32 a132, 0                                // 00000000520C: D3D94084 18000080
	v_accvgpr_write_b32 a133, 0                                // 000000005214: D3D94085 18000080
	v_accvgpr_write_b32 a134, 0                                // 00000000521C: D3D94086 18000080
	v_accvgpr_write_b32 a135, 0                                // 000000005224: D3D94087 18000080
	v_accvgpr_write_b32 a136, 0                                // 00000000522C: D3D94088 18000080
	v_accvgpr_write_b32 a137, 0                                // 000000005234: D3D94089 18000080
	v_accvgpr_write_b32 a138, 0                                // 00000000523C: D3D9408A 18000080
	v_accvgpr_write_b32 a139, 0                                // 000000005244: D3D9408B 18000080
	v_accvgpr_write_b32 a140, 0                                // 00000000524C: D3D9408C 18000080
	v_accvgpr_write_b32 a141, 0                                // 000000005254: D3D9408D 18000080
	v_accvgpr_write_b32 a142, 0                                // 00000000525C: D3D9408E 18000080
	v_accvgpr_write_b32 a143, 0                                // 000000005264: D3D9408F 18000080
	v_accvgpr_write_b32 a144, 0                                // 00000000526C: D3D94090 18000080
	v_accvgpr_write_b32 a145, 0                                // 000000005274: D3D94091 18000080
	v_accvgpr_write_b32 a146, 0                                // 00000000527C: D3D94092 18000080
	v_accvgpr_write_b32 a147, 0                                // 000000005284: D3D94093 18000080
	v_accvgpr_write_b32 a148, 0                                // 00000000528C: D3D94094 18000080
	v_accvgpr_write_b32 a149, 0                                // 000000005294: D3D94095 18000080
	v_accvgpr_write_b32 a150, 0                                // 00000000529C: D3D94096 18000080
	v_accvgpr_write_b32 a151, 0                                // 0000000052A4: D3D94097 18000080
	v_accvgpr_write_b32 a152, 0                                // 0000000052AC: D3D94098 18000080
	v_accvgpr_write_b32 a153, 0                                // 0000000052B4: D3D94099 18000080
	v_accvgpr_write_b32 a154, 0                                // 0000000052BC: D3D9409A 18000080
	v_accvgpr_write_b32 a155, 0                                // 0000000052C4: D3D9409B 18000080
	v_accvgpr_write_b32 a156, 0                                // 0000000052CC: D3D9409C 18000080
	v_accvgpr_write_b32 a157, 0                                // 0000000052D4: D3D9409D 18000080
	v_accvgpr_write_b32 a158, 0                                // 0000000052DC: D3D9409E 18000080
	v_accvgpr_write_b32 a159, 0                                // 0000000052E4: D3D9409F 18000080
	v_accvgpr_write_b32 a160, 0                                // 0000000052EC: D3D940A0 18000080
	v_accvgpr_write_b32 a161, 0                                // 0000000052F4: D3D940A1 18000080
	v_accvgpr_write_b32 a162, 0                                // 0000000052FC: D3D940A2 18000080
	v_accvgpr_write_b32 a163, 0                                // 000000005304: D3D940A3 18000080
	v_accvgpr_write_b32 a164, 0                                // 00000000530C: D3D940A4 18000080
	v_accvgpr_write_b32 a165, 0                                // 000000005314: D3D940A5 18000080
	v_accvgpr_write_b32 a166, 0                                // 00000000531C: D3D940A6 18000080
	v_accvgpr_write_b32 a167, 0                                // 000000005324: D3D940A7 18000080
	v_accvgpr_write_b32 a168, 0                                // 00000000532C: D3D940A8 18000080
	v_accvgpr_write_b32 a169, 0                                // 000000005334: D3D940A9 18000080
	v_accvgpr_write_b32 a170, 0                                // 00000000533C: D3D940AA 18000080
	v_accvgpr_write_b32 a171, 0                                // 000000005344: D3D940AB 18000080
	v_accvgpr_write_b32 a172, 0                                // 00000000534C: D3D940AC 18000080
	v_accvgpr_write_b32 a173, 0                                // 000000005354: D3D940AD 18000080
	v_accvgpr_write_b32 a174, 0                                // 00000000535C: D3D940AE 18000080
	v_accvgpr_write_b32 a175, 0                                // 000000005364: D3D940AF 18000080
	v_accvgpr_write_b32 a176, 0                                // 00000000536C: D3D940B0 18000080
	v_accvgpr_write_b32 a177, 0                                // 000000005374: D3D940B1 18000080
	v_accvgpr_write_b32 a178, 0                                // 00000000537C: D3D940B2 18000080
	v_accvgpr_write_b32 a179, 0                                // 000000005384: D3D940B3 18000080
	v_accvgpr_write_b32 a180, 0                                // 00000000538C: D3D940B4 18000080
	v_accvgpr_write_b32 a181, 0                                // 000000005394: D3D940B5 18000080
	v_accvgpr_write_b32 a182, 0                                // 00000000539C: D3D940B6 18000080
	v_accvgpr_write_b32 a183, 0                                // 0000000053A4: D3D940B7 18000080
	v_accvgpr_write_b32 a184, 0                                // 0000000053AC: D3D940B8 18000080
	v_accvgpr_write_b32 a185, 0                                // 0000000053B4: D3D940B9 18000080
	v_accvgpr_write_b32 a186, 0                                // 0000000053BC: D3D940BA 18000080
	v_accvgpr_write_b32 a187, 0                                // 0000000053C4: D3D940BB 18000080
	v_accvgpr_write_b32 a188, 0                                // 0000000053CC: D3D940BC 18000080
	v_accvgpr_write_b32 a189, 0                                // 0000000053D4: D3D940BD 18000080
	v_accvgpr_write_b32 a190, 0                                // 0000000053DC: D3D940BE 18000080
	v_accvgpr_write_b32 a191, 0                                // 0000000053E4: D3D940BF 18000080
	v_accvgpr_write_b32 a192, 0                                // 0000000053EC: D3D940C0 18000080
	v_accvgpr_write_b32 a193, 0                                // 0000000053F4: D3D940C1 18000080
	v_accvgpr_write_b32 a194, 0                                // 0000000053FC: D3D940C2 18000080
	v_accvgpr_write_b32 a195, 0                                // 000000005404: D3D940C3 18000080
	v_accvgpr_write_b32 a196, 0                                // 00000000540C: D3D940C4 18000080
	v_accvgpr_write_b32 a197, 0                                // 000000005414: D3D940C5 18000080
	v_accvgpr_write_b32 a198, 0                                // 00000000541C: D3D940C6 18000080
	v_accvgpr_write_b32 a199, 0                                // 000000005424: D3D940C7 18000080
	v_accvgpr_write_b32 a200, 0                                // 00000000542C: D3D940C8 18000080
	v_accvgpr_write_b32 a201, 0                                // 000000005434: D3D940C9 18000080
	v_accvgpr_write_b32 a202, 0                                // 00000000543C: D3D940CA 18000080
	v_accvgpr_write_b32 a203, 0                                // 000000005444: D3D940CB 18000080
	v_accvgpr_write_b32 a204, 0                                // 00000000544C: D3D940CC 18000080
	v_accvgpr_write_b32 a205, 0                                // 000000005454: D3D940CD 18000080
	v_accvgpr_write_b32 a206, 0                                // 00000000545C: D3D940CE 18000080
	v_accvgpr_write_b32 a207, 0                                // 000000005464: D3D940CF 18000080
	v_accvgpr_write_b32 a208, 0                                // 00000000546C: D3D940D0 18000080
	v_accvgpr_write_b32 a209, 0                                // 000000005474: D3D940D1 18000080
	v_accvgpr_write_b32 a210, 0                                // 00000000547C: D3D940D2 18000080
	v_accvgpr_write_b32 a211, 0                                // 000000005484: D3D940D3 18000080
	v_accvgpr_write_b32 a212, 0                                // 00000000548C: D3D940D4 18000080
	v_accvgpr_write_b32 a213, 0                                // 000000005494: D3D940D5 18000080
	v_accvgpr_write_b32 a214, 0                                // 00000000549C: D3D940D6 18000080
	v_accvgpr_write_b32 a215, 0                                // 0000000054A4: D3D940D7 18000080
	v_accvgpr_write_b32 a216, 0                                // 0000000054AC: D3D940D8 18000080
	v_accvgpr_write_b32 a217, 0                                // 0000000054B4: D3D940D9 18000080
	v_accvgpr_write_b32 a218, 0                                // 0000000054BC: D3D940DA 18000080
	v_accvgpr_write_b32 a219, 0                                // 0000000054C4: D3D940DB 18000080
	v_accvgpr_write_b32 a220, 0                                // 0000000054CC: D3D940DC 18000080
	v_accvgpr_write_b32 a221, 0                                // 0000000054D4: D3D940DD 18000080
	v_accvgpr_write_b32 a222, 0                                // 0000000054DC: D3D940DE 18000080
	v_accvgpr_write_b32 a223, 0                                // 0000000054E4: D3D940DF 18000080
	v_accvgpr_write_b32 a224, 0                                // 0000000054EC: D3D940E0 18000080
	v_accvgpr_write_b32 a225, 0                                // 0000000054F4: D3D940E1 18000080
	v_accvgpr_write_b32 a226, 0                                // 0000000054FC: D3D940E2 18000080
	v_accvgpr_write_b32 a227, 0                                // 000000005504: D3D940E3 18000080
	v_accvgpr_write_b32 a228, 0                                // 00000000550C: D3D940E4 18000080
	v_accvgpr_write_b32 a229, 0                                // 000000005514: D3D940E5 18000080
	v_accvgpr_write_b32 a230, 0                                // 00000000551C: D3D940E6 18000080
	v_accvgpr_write_b32 a231, 0                                // 000000005524: D3D940E7 18000080
	v_accvgpr_write_b32 a232, 0                                // 00000000552C: D3D940E8 18000080
	v_accvgpr_write_b32 a233, 0                                // 000000005534: D3D940E9 18000080
	v_accvgpr_write_b32 a234, 0                                // 00000000553C: D3D940EA 18000080
	v_accvgpr_write_b32 a235, 0                                // 000000005544: D3D940EB 18000080
	v_accvgpr_write_b32 a236, 0                                // 00000000554C: D3D940EC 18000080
	v_accvgpr_write_b32 a237, 0                                // 000000005554: D3D940ED 18000080
	v_accvgpr_write_b32 a238, 0                                // 00000000555C: D3D940EE 18000080
	v_accvgpr_write_b32 a239, 0                                // 000000005564: D3D940EF 18000080
	v_accvgpr_write_b32 a240, 0                                // 00000000556C: D3D940F0 18000080
	v_accvgpr_write_b32 a241, 0                                // 000000005574: D3D940F1 18000080
	v_accvgpr_write_b32 a242, 0                                // 00000000557C: D3D940F2 18000080
	v_accvgpr_write_b32 a243, 0                                // 000000005584: D3D940F3 18000080
	v_accvgpr_write_b32 a244, 0                                // 00000000558C: D3D940F4 18000080
	v_accvgpr_write_b32 a245, 0                                // 000000005594: D3D940F5 18000080
	v_accvgpr_write_b32 a246, 0                                // 00000000559C: D3D940F6 18000080
	v_accvgpr_write_b32 a247, 0                                // 0000000055A4: D3D940F7 18000080
	v_accvgpr_write_b32 a248, 0                                // 0000000055AC: D3D940F8 18000080
	v_accvgpr_write_b32 a249, 0                                // 0000000055B4: D3D940F9 18000080
	v_accvgpr_write_b32 a250, 0                                // 0000000055BC: D3D940FA 18000080
	v_accvgpr_write_b32 a251, 0                                // 0000000055C4: D3D940FB 18000080
	v_accvgpr_write_b32 a252, 0                                // 0000000055CC: D3D940FC 18000080
	v_accvgpr_write_b32 a253, 0                                // 0000000055D4: D3D940FD 18000080
	v_accvgpr_write_b32 a254, 0                                // 0000000055DC: D3D940FE 18000080
	v_accvgpr_write_b32 a255, 0                                // 0000000055E4: D3D940FF 18000080
	v_mov_b32_e32 v128, 0                                      // 0000000055EC: 7F000280
	v_mov_b32_e32 v129, 0                                      // 0000000055F0: 7F020280
	v_mov_b32_e32 v130, 0                                      // 0000000055F4: 7F040280
	v_mov_b32_e32 v131, 0                                      // 0000000055F8: 7F060280
	v_mov_b32_e32 v132, 0                                      // 0000000055FC: 7F080280
	v_mov_b32_e32 v133, 0                                      // 000000005600: 7F0A0280
	v_mov_b32_e32 v134, 0                                      // 000000005604: 7F0C0280
	v_mov_b32_e32 v135, 0                                      // 000000005608: 7F0E0280
	v_mov_b32_e32 v136, 0                                      // 00000000560C: 7F100280
	v_mov_b32_e32 v137, 0                                      // 000000005610: 7F120280
	v_mov_b32_e32 v138, 0                                      // 000000005614: 7F140280
	v_mov_b32_e32 v139, 0                                      // 000000005618: 7F160280
	v_mov_b32_e32 v140, 0                                      // 00000000561C: 7F180280
	v_mov_b32_e32 v141, 0                                      // 000000005620: 7F1A0280
	v_mov_b32_e32 v142, 0                                      // 000000005624: 7F1C0280
	v_mov_b32_e32 v143, 0                                      // 000000005628: 7F1E0280
	v_mov_b32_e32 v144, 0                                      // 00000000562C: 7F200280
	v_mov_b32_e32 v145, 0                                      // 000000005630: 7F220280
	v_mov_b32_e32 v146, 0                                      // 000000005634: 7F240280
	v_mov_b32_e32 v147, 0                                      // 000000005638: 7F260280
	v_mov_b32_e32 v148, 0                                      // 00000000563C: 7F280280
	v_mov_b32_e32 v149, 0                                      // 000000005640: 7F2A0280
	v_mov_b32_e32 v150, 0                                      // 000000005644: 7F2C0280
	v_mov_b32_e32 v151, 0                                      // 000000005648: 7F2E0280
	v_mov_b32_e32 v152, 0                                      // 00000000564C: 7F300280
	v_mov_b32_e32 v153, 0                                      // 000000005650: 7F320280
	v_mov_b32_e32 v154, 0                                      // 000000005654: 7F340280
	v_mov_b32_e32 v155, 0                                      // 000000005658: 7F360280
	v_mov_b32_e32 v156, 0                                      // 00000000565C: 7F380280
	v_mov_b32_e32 v157, 0                                      // 000000005660: 7F3A0280
	v_mov_b32_e32 v158, 0                                      // 000000005664: 7F3C0280
	v_mov_b32_e32 v159, 0                                      // 000000005668: 7F3E0280
	v_mov_b32_e32 v160, 0                                      // 00000000566C: 7F400280
	v_mov_b32_e32 v161, 0                                      // 000000005670: 7F420280
	v_mov_b32_e32 v162, 0                                      // 000000005674: 7F440280
	v_mov_b32_e32 v163, 0                                      // 000000005678: 7F460280
	v_mov_b32_e32 v164, 0                                      // 00000000567C: 7F480280
	v_mov_b32_e32 v165, 0                                      // 000000005680: 7F4A0280
	v_mov_b32_e32 v166, 0                                      // 000000005684: 7F4C0280
	v_mov_b32_e32 v167, 0                                      // 000000005688: 7F4E0280
	v_mov_b32_e32 v168, 0                                      // 00000000568C: 7F500280
	v_mov_b32_e32 v169, 0                                      // 000000005690: 7F520280
	v_mov_b32_e32 v170, 0                                      // 000000005694: 7F540280
	v_mov_b32_e32 v171, 0                                      // 000000005698: 7F560280
	v_mov_b32_e32 v172, 0                                      // 00000000569C: 7F580280
	v_mov_b32_e32 v173, 0                                      // 0000000056A0: 7F5A0280
	v_mov_b32_e32 v174, 0                                      // 0000000056A4: 7F5C0280
	v_mov_b32_e32 v175, 0                                      // 0000000056A8: 7F5E0280
	v_mov_b32_e32 v176, 0                                      // 0000000056AC: 7F600280
	v_mov_b32_e32 v177, 0                                      // 0000000056B0: 7F620280
	v_mov_b32_e32 v178, 0                                      // 0000000056B4: 7F640280
	v_mov_b32_e32 v179, 0                                      // 0000000056B8: 7F660280
	v_mov_b32_e32 v180, 0                                      // 0000000056BC: 7F680280
	v_mov_b32_e32 v181, 0                                      // 0000000056C0: 7F6A0280
	v_mov_b32_e32 v182, 0                                      // 0000000056C4: 7F6C0280
	v_mov_b32_e32 v183, 0                                      // 0000000056C8: 7F6E0280
	v_mov_b32_e32 v184, 0                                      // 0000000056CC: 7F700280
	v_mov_b32_e32 v185, 0                                      // 0000000056D0: 7F720280
	v_mov_b32_e32 v186, 0                                      // 0000000056D4: 7F740280
	v_mov_b32_e32 v187, 0                                      // 0000000056D8: 7F760280
	v_mov_b32_e32 v188, 0                                      // 0000000056DC: 7F780280
	v_mov_b32_e32 v189, 0                                      // 0000000056E0: 7F7A0280
	v_mov_b32_e32 v190, 0                                      // 0000000056E4: 7F7C0280
	v_mov_b32_e32 v191, 0                                      // 0000000056E8: 7F7E0280
	v_mov_b32_e32 v192, 0                                      // 0000000056EC: 7F800280
	v_mov_b32_e32 v193, 0                                      // 0000000056F0: 7F820280
	v_mov_b32_e32 v194, 0                                      // 0000000056F4: 7F840280
	v_mov_b32_e32 v195, 0                                      // 0000000056F8: 7F860280
	v_mov_b32_e32 v196, 0                                      // 0000000056FC: 7F880280
	v_mov_b32_e32 v197, 0                                      // 000000005700: 7F8A0280
	v_mov_b32_e32 v198, 0                                      // 000000005704: 7F8C0280
	v_mov_b32_e32 v199, 0                                      // 000000005708: 7F8E0280
	v_mov_b32_e32 v200, 0                                      // 00000000570C: 7F900280
	v_mov_b32_e32 v201, 0                                      // 000000005710: 7F920280
	v_mov_b32_e32 v202, 0                                      // 000000005714: 7F940280
	v_mov_b32_e32 v203, 0                                      // 000000005718: 7F960280
	v_mov_b32_e32 v204, 0                                      // 00000000571C: 7F980280
	v_mov_b32_e32 v205, 0                                      // 000000005720: 7F9A0280
	v_mov_b32_e32 v206, 0                                      // 000000005724: 7F9C0280
	v_mov_b32_e32 v207, 0                                      // 000000005728: 7F9E0280
	v_mov_b32_e32 v208, 0                                      // 00000000572C: 7FA00280
	v_mov_b32_e32 v209, 0                                      // 000000005730: 7FA20280
	v_mov_b32_e32 v210, 0                                      // 000000005734: 7FA40280
	v_mov_b32_e32 v211, 0                                      // 000000005738: 7FA60280
	v_mov_b32_e32 v212, 0                                      // 00000000573C: 7FA80280
	v_mov_b32_e32 v213, 0                                      // 000000005740: 7FAA0280
	v_mov_b32_e32 v214, 0                                      // 000000005744: 7FAC0280
	v_mov_b32_e32 v215, 0                                      // 000000005748: 7FAE0280
	v_mov_b32_e32 v216, 0                                      // 00000000574C: 7FB00280
	v_mov_b32_e32 v217, 0                                      // 000000005750: 7FB20280
	v_mov_b32_e32 v218, 0                                      // 000000005754: 7FB40280
	v_mov_b32_e32 v219, 0                                      // 000000005758: 7FB60280
	v_mov_b32_e32 v220, 0                                      // 00000000575C: 7FB80280
	v_mov_b32_e32 v221, 0                                      // 000000005760: 7FBA0280
	v_mov_b32_e32 v222, 0                                      // 000000005764: 7FBC0280
	v_mov_b32_e32 v223, 0                                      // 000000005768: 7FBE0280
	v_mov_b32_e32 v108, 0                                      // 00000000576C: 7ED80280
	v_mov_b32_e32 v109, 0                                      // 000000005770: 7EDA0280
	v_mov_b32_e32 v110, 0                                      // 000000005774: 7EDC0280
	v_mov_b32_e32 v111, 0                                      // 000000005778: 7EDE0280
	v_mov_b32_e32 v112, 0                                      // 00000000577C: 7EE00280
	v_mov_b32_e32 v113, 0                                      // 000000005780: 7EE20280
	v_mov_b32_e32 v114, 0                                      // 000000005784: 7EE40280
	v_mov_b32_e32 v115, 0                                      // 000000005788: 7EE60280
	v_mov_b32_e32 v116, 0                                      // 00000000578C: 7EE80280
	v_mov_b32_e32 v117, 0                                      // 000000005790: 7EEA0280
	v_mov_b32_e32 v118, 0                                      // 000000005794: 7EEC0280
	v_mov_b32_e32 v119, 0                                      // 000000005798: 7EEE0280
	s_waitcnt vmcnt(0) lgkmcnt(0)                              // 00000000579C: BF8C0070
	s_barrier                                                  // 0000000057A0: BF8A0000
	s_mov_b32 m0, s87                                          // 0000000057A4: BEFC0057
	buffer_load_dwordx4 v1, s[8:11], 0 idxen lds               // 0000000057A8: E05D2000 80020001
	s_mov_b32 m0, s88                                          // 0000000057B0: BEFC0058
	buffer_load_dword v2, s[8:11], 0 idxen lds                 // 0000000057B4: E0512000 80020002
	s_mov_b32 m0, s89                                          // 0000000057BC: BEFC0059
	buffer_load_dword v3, s[8:11], 0 idxen lds                 // 0000000057C0: E0512000 80020003
	s_mov_b32 m0, s92                                          // 0000000057C8: BEFC005C
	buffer_load_dwordx4 v4, s[20:23], 0 idxen lds              // 0000000057CC: E05D2000 80050004
	s_mov_b32 m0, s80                                          // 0000000057D4: BEFC0050
	buffer_load_dword v11, s[24:27], 0 idxen lds               // 0000000057D8: E0512000 8006000B
	v_mul_f32_e32 v104, s48, v104                              // 0000000057E0: 0AD0D030
	v_add_u32_e32 v1, s68, v1                                  // 0000000057E4: 68020244
	v_add_u32_e32 v2, s68, v2                                  // 0000000057E8: 68040444
	v_add_u32_e32 v3, s68, v3                                  // 0000000057EC: 68060644
	v_add_u32_e32 v4, s101, v4                                 // 0000000057F0: 68080865
	v_add_u32_e32 v11, s69, v11                                // 0000000057F4: 68161645
	v_mov_b32_dpp v107, v104 quad_perm:[3,3,3,3] row_mask:0xf bank_mask:0xf// 0000000057F8: 7ED602FA FF00FF68
	v_mov_b32_dpp v106, v104 quad_perm:[2,2,2,2] row_mask:0xf bank_mask:0xf// 000000005800: 7ED402FA FF00AA68
	v_mov_b32_dpp v105, v104 quad_perm:[1,1,1,1] row_mask:0xf bank_mask:0xf// 000000005808: 7ED202FA FF005568
	v_mov_b32_dpp v104, v104 quad_perm:[0,0,0,0] row_mask:0xf bank_mask:0xf// 000000005810: 7ED002FA FF000068
	s_cmp_lt_i32 s46, 2                                        // 000000005818: BF04822E
	s_cbranch_scc0 label_0F23                                  // 00000000581C: BF84090C
	s_nop 0                                                    // 000000005820: BF800000
	s_nop 0                                                    // 000000005824: BF800000

0000000000005828 <label_060A>:
	s_waitcnt lgkmcnt(2)                                       // 000000005828: BF8CC27F
	v_mfma_f32_16x16x32_bf16 v[36:39], v[224:227], a[0:3], 0   // 00000000582C: D3B50024 120201E0
	ds_read_b128 a[48:51], v17 offset:49152                    // 000000005834: DBFEC000 30000011
	ds_read_b128 a[52:55], v17 offset:50176                    // 00000000583C: DBFEC400 34000011
	v_mfma_f32_16x16x32_bf16 v[36:39], v[228:231], a[4:7], v[36:39]// 000000005844: D3B50024 149209E4
	v_add_u32_e32 v7, s66, v7                                  // 00000000584C: 680E0E42
	v_add_u32_e32 v8, s66, v8                                  // 000000005850: 68101042
	v_mfma_f32_16x16x32_bf16 v[36:39], v[232:235], a[8:11], v[36:39]// 000000005854: D3B50024 149211E8
	ds_read_b128 a[56:59], v17 offset:51200                    // 00000000585C: DBFEC800 38000011
	ds_read_b128 a[60:63], v17 offset:52224                    // 000000005864: DBFECC00 3C000011
	v_mfma_f32_16x16x32_bf16 v[36:39], v[236:239], a[12:15], v[36:39]// 00000000586C: D3B50024 149219EC
	v_add_u32_e32 v9, s66, v9                                  // 000000005874: 68121242
	v_add_u32_e32 v10, s66, v10                                // 000000005878: 68141442
	v_mfma_f32_16x16x32_bf16 v[36:39], v[240:243], a[16:19], v[36:39]// 00000000587C: D3B50024 149221F0
	ds_read_b128 v[248:251], v17 offset:53248                  // 000000005884: D9FED000 F8000011
	ds_read_b128 v[252:255], v17 offset:54272                  // 00000000588C: D9FED400 FC000011
	v_mfma_f32_16x16x32_bf16 v[36:39], v[244:247], a[20:23], v[36:39]// 000000005894: D3B50024 149229F4
	v_mul_f32_e32 v114, s47, v114                              // 00000000589C: 0AE4E42F
	v_mul_f32_e32 v115, s47, v115                              // 0000000058A0: 0AE6E62F
	v_mfma_f32_16x16x32_bf16 v[40:43], v[224:227], a[24:27], 0 // 0000000058A4: D3B50028 120231E0
	ds_read_b128 v[72:75], v12 offset:18432                    // 0000000058AC: D9FE4800 4800000C
	ds_read_b128 v[76:79], v12 offset:19456                    // 0000000058B4: D9FE4C00 4C00000C
	v_mfma_f32_16x16x32_bf16 v[40:43], v[228:231], a[28:31], v[40:43]// 0000000058BC: D3B50028 14A239E4
	v_mul_f32_e32 v116, s47, v116                              // 0000000058C4: 0AE8E82F
	v_mul_f32_e32 v117, s47, v117                              // 0000000058C8: 0AEAEA2F
	v_mfma_f32_16x16x32_bf16 v[40:43], v[232:235], a[32:35], v[40:43]// 0000000058CC: D3B50028 14A241E8
	ds_read_b128 v[80:83], v12 offset:20480                    // 0000000058D4: D9FE5000 5000000C
	ds_read_b128 v[84:87], v12 offset:21504                    // 0000000058DC: D9FE5400 5400000C
	v_mfma_f32_16x16x32_bf16 v[40:43], v[236:239], a[36:39], v[40:43]// 0000000058E4: D3B50028 14A249EC
	v_mul_f32_e32 v118, s47, v118                              // 0000000058EC: 0AECEC2F
	v_mul_f32_e32 v119, s47, v119                              // 0000000058F0: 0AEEEE2F
	buffer_atomic_add_f32 v108, v7, s[32:35], 0 offen          // 0000000058F4: E1341000 80086C07
	s_waitcnt lgkmcnt(10)                                      // 0000000058FC: BF8CCA7F
	v_mfma_f32_16x16x32_bf16 v[40:43], v[240:243], a[40:43], v[40:43]// 000000005900: D3B50028 14A251F0
	ds_read_b64_tr_b16 v[88:89], v13 offset:18432              // 000000005908: D9C64800 5800000D
	ds_read_b64_tr_b16 v[90:91], v13 offset:18688              // 000000005910: D9C64900 5A00000D
	v_mfma_f32_16x16x32_bf16 v[40:43], v[244:247], a[44:47], v[40:43]// 000000005918: D3B50028 14A259F4
	v_fma_f32 v36, v36, s57, -v104                             // 000000005920: D1CB0024 85A07324
	v_fma_f32 v37, v37, s57, -v105                             // 000000005928: D1CB0025 85A47325
	s_waitcnt lgkmcnt(10)                                      // 000000005930: BF8CCA7F
	v_mfma_f32_16x16x32_bf16 v[44:47], v[224:227], a[48:51], 0 // 000000005934: D3B5002C 120261E0
	ds_read_b64_tr_b16 v[92:93], v13 offset:19456              // 00000000593C: D9C64C00 5C00000D
	ds_read_b64_tr_b16 v[94:95], v13 offset:19712              // 000000005944: D9C64D00 5E00000D
	v_mfma_f32_16x16x32_bf16 v[44:47], v[228:231], a[52:55], v[44:47]// 00000000594C: D3B5002C 14B269E4
	v_fma_f32 v38, v38, s57, -v106                             // 000000005954: D1CB0026 85A87326
	v_fma_f32 v39, v39, s57, -v107                             // 00000000595C: D1CB0027 85AC7327
	s_waitcnt lgkmcnt(10)                                      // 000000005964: BF8CCA7F
	v_mfma_f32_16x16x32_bf16 v[44:47], v[232:235], a[56:59], v[44:47]// 000000005968: D3B5002C 14B271E8
	ds_read_b64_tr_b16 v[96:97], v13 offset:20480              // 000000005970: D9C65000 6000000D
	ds_read_b64_tr_b16 v[98:99], v13 offset:20736              // 000000005978: D9C65100 6200000D
	v_mfma_f32_16x16x32_bf16 v[44:47], v[236:239], a[60:63], v[44:47]// 000000005980: D3B5002C 14B279EC
	v_fma_f32 v40, v40, s57, -v104                             // 000000005988: D1CB0028 85A07328
	v_fma_f32 v41, v41, s57, -v105                             // 000000005990: D1CB0029 85A47329
	buffer_atomic_add_f32 v109, v8, s[32:35], 0 offen          // 000000005998: E1341000 80086D08
	s_waitcnt lgkmcnt(10)                                      // 0000000059A0: BF8CCA7F
	v_mfma_f32_16x16x32_bf16 v[44:47], v[240:243], v[248:251], v[44:47]// 0000000059A4: D3B5002C 04B3F1F0
	ds_read_b64_tr_b16 v[100:101], v13 offset:21504            // 0000000059AC: D9C65400 6400000D
	ds_read_b64_tr_b16 v[102:103], v13 offset:21760            // 0000000059B4: D9C65500 6600000D
	v_mfma_f32_16x16x32_bf16 v[44:47], v[244:247], v[252:255], v[44:47]// 0000000059BC: D3B5002C 04B3F9F4
	v_fma_f32 v42, v42, s57, -v106                             // 0000000059C4: D1CB002A 85A8732A
	v_fma_f32 v43, v43, s57, -v107                             // 0000000059CC: D1CB002B 85AC732B
	s_cmp_lt_i32 s74, 12                                       // 0000000059D4: BF048C4A
	s_cbranch_scc0 label_06EC                                  // 0000000059D8: BF840075
	s_mov_b32 s60, 0xffe0fffe                                  // 0000000059DC: BEBC00FF FFE0FFFE
	s_mov_b32 s61, 0xe000fe00                                  // 0000000059E4: BEBD00FF E000FE00
	s_nop 0                                                    // 0000000059EC: BF800000
	s_add_u32 s62, 0, s46                                      // 0000000059F0: 803E2E80
	s_cmp_lt_i32 s74, s62                                      // 0000000059F4: BF043E4A
	s_cbranch_scc1 label_06A7                                  // 0000000059F8: BF850028
	s_cmp_eq_i32 s74, s62                                      // 0000000059FC: BF003E4A
	s_cbranch_scc1 label_068C                                  // 000000005A00: BF85000B
	s_add_u32 s62, 4, s46                                      // 000000005A04: 803E2E84
	s_cmp_lt_i32 s74, s62                                      // 000000005A08: BF043E4A
	s_cbranch_scc1 label_06C7                                  // 000000005A0C: BF850043
	s_cmp_eq_i32 s74, s62                                      // 000000005A10: BF003E4A
	s_cbranch_scc1 label_06AC                                  // 000000005A14: BF850026
	s_add_u32 s62, 8, s46                                      // 000000005A18: 803E2E88
	s_cmp_lt_i32 s74, s62                                      // 000000005A1C: BF043E4A
	s_cbranch_scc1 label_06E7                                  // 000000005A20: BF85005E
	s_cmp_eq_i32 s74, s62                                      // 000000005A24: BF003E4A
	s_cbranch_scc1 label_06CC                                  // 000000005A28: BF850041
	s_branch label_06EC                                        // 000000005A2C: BF820060

0000000000005a30 <label_068C>:
	v_cndmask_b32_e64 v36, v36, v127, s[60:61]                 // 000000005A30: D1000024 00F2FF24
	s_lshl_b32 s60, s60, 1                                     // 000000005A38: 8E3C813C
	s_lshl_b32 s61, s61, 1                                     // 000000005A3C: 8E3D813D
	s_and_b32 s60, 0xfffeffff, s60                             // 000000005A40: 863C3CFF FFFEFFFF
	s_and_b32 s61, 0xfffeffff, s61                             // 000000005A48: 863D3DFF FFFEFFFF
	v_cndmask_b32_e64 v37, v37, v127, s[60:61]                 // 000000005A50: D1000025 00F2FF25
	s_lshl_b32 s60, s60, 1                                     // 000000005A58: 8E3C813C
	s_lshl_b32 s61, s61, 1                                     // 000000005A5C: 8E3D813D
	s_and_b32 s60, 0xfffeffff, s60                             // 000000005A60: 863C3CFF FFFEFFFF
	s_and_b32 s61, 0xfffeffff, s61                             // 000000005A68: 863D3DFF FFFEFFFF
	v_cndmask_b32_e64 v38, v38, v127, s[60:61]                 // 000000005A70: D1000026 00F2FF26
	s_lshl_b32 s60, s60, 1                                     // 000000005A78: 8E3C813C
	s_lshl_b32 s61, s61, 1                                     // 000000005A7C: 8E3D813D
	s_and_b32 s60, 0xfffeffff, s60                             // 000000005A80: 863C3CFF FFFEFFFF
	s_and_b32 s61, 0xfffeffff, s61                             // 000000005A88: 863D3DFF FFFEFFFF
	v_cndmask_b32_e64 v39, v39, v127, s[60:61]                 // 000000005A90: D1000027 00F2FF27
	s_branch label_06C7                                        // 000000005A98: BF820020

0000000000005a9c <label_06A7>:
	v_mov_b32_e32 v36, v127                                    // 000000005A9C: 7E48037F
	v_mov_b32_e32 v37, v127                                    // 000000005AA0: 7E4A037F
	v_mov_b32_e32 v38, v127                                    // 000000005AA4: 7E4C037F
	v_mov_b32_e32 v39, v127                                    // 000000005AA8: 7E4E037F
	s_branch label_06C7                                        // 000000005AAC: BF82001B

0000000000005ab0 <label_06AC>:
	v_cndmask_b32_e64 v40, v40, v127, s[60:61]                 // 000000005AB0: D1000028 00F2FF28
	s_lshl_b32 s60, s60, 1                                     // 000000005AB8: 8E3C813C
	s_lshl_b32 s61, s61, 1                                     // 000000005ABC: 8E3D813D
	s_and_b32 s60, 0xfffeffff, s60                             // 000000005AC0: 863C3CFF FFFEFFFF
	s_and_b32 s61, 0xfffeffff, s61                             // 000000005AC8: 863D3DFF FFFEFFFF
	v_cndmask_b32_e64 v41, v41, v127, s[60:61]                 // 000000005AD0: D1000029 00F2FF29
	s_lshl_b32 s60, s60, 1                                     // 000000005AD8: 8E3C813C
	s_lshl_b32 s61, s61, 1                                     // 000000005ADC: 8E3D813D
	s_and_b32 s60, 0xfffeffff, s60                             // 000000005AE0: 863C3CFF FFFEFFFF
	s_and_b32 s61, 0xfffeffff, s61                             // 000000005AE8: 863D3DFF FFFEFFFF
	v_cndmask_b32_e64 v42, v42, v127, s[60:61]                 // 000000005AF0: D100002A 00F2FF2A
	s_lshl_b32 s60, s60, 1                                     // 000000005AF8: 8E3C813C
	s_lshl_b32 s61, s61, 1                                     // 000000005AFC: 8E3D813D
	s_and_b32 s60, 0xfffeffff, s60                             // 000000005B00: 863C3CFF FFFEFFFF
	s_and_b32 s61, 0xfffeffff, s61                             // 000000005B08: 863D3DFF FFFEFFFF
	v_cndmask_b32_e64 v43, v43, v127, s[60:61]                 // 000000005B10: D100002B 00F2FF2B
	s_branch label_06E7                                        // 000000005B18: BF820020

0000000000005b1c <label_06C7>:
	v_mov_b32_e32 v40, v127                                    // 000000005B1C: 7E50037F
	v_mov_b32_e32 v41, v127                                    // 000000005B20: 7E52037F
	v_mov_b32_e32 v42, v127                                    // 000000005B24: 7E54037F
	v_mov_b32_e32 v43, v127                                    // 000000005B28: 7E56037F
	s_branch label_06E7                                        // 000000005B2C: BF82001B

0000000000005b30 <label_06CC>:
	v_cndmask_b32_e64 v44, v44, v127, s[60:61]                 // 000000005B30: D100002C 00F2FF2C
	s_lshl_b32 s60, s60, 1                                     // 000000005B38: 8E3C813C
	s_lshl_b32 s61, s61, 1                                     // 000000005B3C: 8E3D813D
	s_and_b32 s60, 0xfffeffff, s60                             // 000000005B40: 863C3CFF FFFEFFFF
	s_and_b32 s61, 0xfffeffff, s61                             // 000000005B48: 863D3DFF FFFEFFFF
	v_cndmask_b32_e64 v45, v45, v127, s[60:61]                 // 000000005B50: D100002D 00F2FF2D
	s_lshl_b32 s60, s60, 1                                     // 000000005B58: 8E3C813C
	s_lshl_b32 s61, s61, 1                                     // 000000005B5C: 8E3D813D
	s_and_b32 s60, 0xfffeffff, s60                             // 000000005B60: 863C3CFF FFFEFFFF
	s_and_b32 s61, 0xfffeffff, s61                             // 000000005B68: 863D3DFF FFFEFFFF
	v_cndmask_b32_e64 v46, v46, v127, s[60:61]                 // 000000005B70: D100002E 00F2FF2E
	s_lshl_b32 s60, s60, 1                                     // 000000005B78: 8E3C813C
	s_lshl_b32 s61, s61, 1                                     // 000000005B7C: 8E3D813D
	s_and_b32 s60, 0xfffeffff, s60                             // 000000005B80: 863C3CFF FFFEFFFF
	s_and_b32 s61, 0xfffeffff, s61                             // 000000005B88: 863D3DFF FFFEFFFF
	v_cndmask_b32_e64 v47, v47, v127, s[60:61]                 // 000000005B90: D100002F 00F2FF2F
	s_branch label_06EC                                        // 000000005B98: BF820005

0000000000005b9c <label_06E7>:
	v_mov_b32_e32 v44, v127                                    // 000000005B9C: 7E58037F
	v_mov_b32_e32 v45, v127                                    // 000000005BA0: 7E5A037F
	v_mov_b32_e32 v46, v127                                    // 000000005BA4: 7E5C037F
	v_mov_b32_e32 v47, v127                                    // 000000005BA8: 7E5E037F
	s_branch label_06EC                                        // 000000005BAC: BF820000

0000000000005bb0 <label_06EC>:
	s_cmp_lt_i32 s64, 0xc0                                     // 000000005BB0: BF04FF40 000000C0
	s_cbranch_scc0 label_0741                                  // 000000005BB8: BF84004D
	s_cmp_le_i32 s64, 64                                       // 000000005BBC: BF05C040
	s_cbranch_scc1 label_06F8                                  // 000000005BC0: BF850007
	s_cmp_le_i32 s64, 0x80                                     // 000000005BC4: BF05FF40 00000080
	s_cbranch_scc1 label_0710                                  // 000000005BCC: BF850017
	s_cmp_lt_i32 s64, 0xc0                                     // 000000005BD0: BF04FF40 000000C0
	s_cbranch_scc1 label_0728                                  // 000000005BD8: BF85002C
	s_branch label_0741                                        // 000000005BDC: BF820044

0000000000005be0 <label_06F8>:
	s_mov_b32 s60, 0                                           // 000000005BE0: BEBC0080
	v_and_b32_e32 v32, 15, v0                                  // 000000005BE4: 2640008F
	v_add_u32_e64 v32, v32, s60                                // 000000005BE8: D1340020 00007920
	v_mul_i32_i24_e64 v33, s46, 16                             // 000000005BF0: D1060021 0001202E
	v_add_u32_e32 v32, v32, v33                                // 000000005BF8: 68404320
	v_cmp_lt_u32_e64 s[60:61], v32, s64                        // 000000005BFC: D0C9003C 00008120
	s_nop 1                                                    // 000000005C04: BF800001
	v_cndmask_b32_e64 v36, v127, v36, s[60:61]                 // 000000005C08: D1000024 00F2497F
	v_cndmask_b32_e64 v37, v127, v37, s[60:61]                 // 000000005C10: D1000025 00F24B7F
	v_cndmask_b32_e64 v38, v127, v38, s[60:61]                 // 000000005C18: D1000026 00F24D7F
	v_cndmask_b32_e64 v39, v127, v39, s[60:61]                 // 000000005C20: D1000027 00F24F7F
	s_branch label_0723                                        // 000000005C28: BF820013

0000000000005c2c <label_0710>:
	s_mov_b32 s60, 64                                          // 000000005C2C: BEBC00C0
	v_and_b32_e32 v32, 15, v0                                  // 000000005C30: 2640008F
	v_add_u32_e64 v32, v32, s60                                // 000000005C34: D1340020 00007920
	v_mul_i32_i24_e64 v33, s46, 16                             // 000000005C3C: D1060021 0001202E
	v_add_u32_e32 v32, v32, v33                                // 000000005C44: 68404320
	v_cmp_lt_u32_e64 s[60:61], v32, s64                        // 000000005C48: D0C9003C 00008120
	s_nop 1                                                    // 000000005C50: BF800001
	v_cndmask_b32_e64 v40, v127, v40, s[60:61]                 // 000000005C54: D1000028 00F2517F
	v_cndmask_b32_e64 v41, v127, v41, s[60:61]                 // 000000005C5C: D1000029 00F2537F
	v_cndmask_b32_e64 v42, v127, v42, s[60:61]                 // 000000005C64: D100002A 00F2557F
	v_cndmask_b32_e64 v43, v127, v43, s[60:61]                 // 000000005C6C: D100002B 00F2577F
	s_branch label_073C                                        // 000000005C74: BF820019

0000000000005c78 <label_0723>:
	v_mov_b32_e32 v40, v127                                    // 000000005C78: 7E50037F
	v_mov_b32_e32 v41, v127                                    // 000000005C7C: 7E52037F
	v_mov_b32_e32 v42, v127                                    // 000000005C80: 7E54037F
	v_mov_b32_e32 v43, v127                                    // 000000005C84: 7E56037F
	s_branch label_073C                                        // 000000005C88: BF820014

0000000000005c8c <label_0728>:
	s_mov_b32 s60, 0x80                                        // 000000005C8C: BEBC00FF 00000080
	v_and_b32_e32 v32, 15, v0                                  // 000000005C94: 2640008F
	v_add_u32_e64 v32, v32, s60                                // 000000005C98: D1340020 00007920
	v_mul_i32_i24_e64 v33, s46, 16                             // 000000005CA0: D1060021 0001202E
	v_add_u32_e32 v32, v32, v33                                // 000000005CA8: 68404320
	v_cmp_lt_u32_e64 s[60:61], v32, s64                        // 000000005CAC: D0C9003C 00008120
	s_nop 1                                                    // 000000005CB4: BF800001
	v_cndmask_b32_e64 v44, v127, v44, s[60:61]                 // 000000005CB8: D100002C 00F2597F
	v_cndmask_b32_e64 v45, v127, v45, s[60:61]                 // 000000005CC0: D100002D 00F25B7F
	v_cndmask_b32_e64 v46, v127, v46, s[60:61]                 // 000000005CC8: D100002E 00F25D7F
	v_cndmask_b32_e64 v47, v127, v47, s[60:61]                 // 000000005CD0: D100002F 00F25F7F
	s_branch label_0741                                        // 000000005CD8: BF820005

0000000000005cdc <label_073C>:
	v_mov_b32_e32 v44, v127                                    // 000000005CDC: 7E58037F
	v_mov_b32_e32 v45, v127                                    // 000000005CE0: 7E5A037F
	v_mov_b32_e32 v46, v127                                    // 000000005CE4: 7E5C037F
	v_mov_b32_e32 v47, v127                                    // 000000005CE8: 7E5E037F
	s_branch label_0741                                        // 000000005CEC: BF820000

0000000000005cf0 <label_0741>:
	s_addk_i32 s74, 0x1                                        // 000000005CF0: B74A0001
	s_waitcnt lgkmcnt(8)                                       // 000000005CF4: BF8CC87F
	v_mfma_f32_16x16x32_bf16 v[60:63], v[72:75], a[64:67], 0   // 000000005CF8: D3B5003C 12028148
	v_exp_f32_e32 v36, v36                                     // 000000005D00: 7E484124
	v_exp_f32_e32 v37, v37                                     // 000000005D04: 7E4A4125
	v_mfma_f32_16x16x32_bf16 v[60:63], v[76:79], a[68:71], v[60:63]// 000000005D08: D3B5003C 14F2894C
	v_exp_f32_e32 v38, v38                                     // 000000005D10: 7E4C4126
	v_exp_f32_e32 v39, v39                                     // 000000005D14: 7E4E4127
	v_mfma_f32_16x16x32_bf16 v[60:63], v[80:83], a[72:75], v[60:63]// 000000005D18: D3B5003C 14F29150
	ds_read_b64_tr_b16 v[224:225], v13                         // 000000005D20: D9C60000 E000000D
	ds_read_b64_tr_b16 v[226:227], v13 offset:256              // 000000005D28: D9C60100 E200000D
	ds_read_b64_tr_b16 v[228:229], v13 offset:1024             // 000000005D30: D9C60400 E400000D
	ds_read_b64_tr_b16 v[230:231], v13 offset:1280             // 000000005D38: D9C60500 E600000D
	v_mfma_f32_16x16x32_bf16 v[60:63], v[84:87], a[76:79], v[60:63]// 000000005D40: D3B5003C 14F29954
	v_fma_f32 v44, v44, s57, -v104                             // 000000005D48: D1CB002C 85A0732C
	v_fma_f32 v45, v45, s57, -v105                             // 000000005D50: D1CB002D 85A4732D
	v_exp_f32_e32 v40, v40                                     // 000000005D58: 7E504128
	v_exp_f32_e32 v41, v41                                     // 000000005D5C: 7E524129
	buffer_atomic_add_f32 v110, v9, s[32:35], 0 offen          // 000000005D60: E1341000 80086E09
	v_mfma_f32_16x16x32_bf16 v[64:67], v[72:75], a[80:83], 0   // 000000005D68: D3B50040 1202A148
	ds_read_b64_tr_b16 v[232:233], v13 offset:2048             // 000000005D70: D9C60800 E800000D
	ds_read_b64_tr_b16 v[234:235], v13 offset:2304             // 000000005D78: D9C60900 EA00000D
	ds_read_b64_tr_b16 v[236:237], v13 offset:3072             // 000000005D80: D9C60C00 EC00000D
	ds_read_b64_tr_b16 v[238:239], v13 offset:3328             // 000000005D88: D9C60D00 EE00000D
	v_mfma_f32_16x16x32_bf16 v[64:67], v[76:79], a[84:87], v[64:67]// 000000005D90: D3B50040 1502A94C
	v_fma_f32 v46, v46, s57, -v106                             // 000000005D98: D1CB002E 85A8732E
	v_fma_f32 v47, v47, s57, -v107                             // 000000005DA0: D1CB002F 85AC732F
	v_exp_f32_e32 v42, v42                                     // 000000005DA8: 7E54412A
	v_exp_f32_e32 v43, v43                                     // 000000005DAC: 7E56412B
	v_mfma_f32_16x16x32_bf16 v[64:67], v[80:83], a[88:91], v[64:67]// 000000005DB0: D3B50040 1502B150
	v_exp_f32_e32 v44, v44                                     // 000000005DB8: 7E58412C
	v_exp_f32_e32 v45, v45                                     // 000000005DBC: 7E5A412D
	v_mfma_f32_16x16x32_bf16 v[64:67], v[84:87], a[92:95], v[64:67]// 000000005DC0: D3B50040 1502B954
	v_cvt_pk_bf16_f32 v120, v36, v37                           // 000000005DC8: D2680078 00024B24
	v_cvt_pk_bf16_f32 v121, v38, v39                           // 000000005DD0: D2680079 00024F26
	v_cvt_pk_bf16_f32 v122, v40, v41                           // 000000005DD8: D268007A 00025328
	v_cvt_pk_bf16_f32 v123, v42, v43                           // 000000005DE0: D268007B 0002572A
	v_mfma_f32_16x16x32_bf16 v[68:71], v[72:75], a[96:99], 0   // 000000005DE8: D3B50044 1202C148
	v_exp_f32_e32 v46, v46                                     // 000000005DF0: 7E5C412E
	v_exp_f32_e32 v47, v47                                     // 000000005DF4: 7E5E412F
	v_mfma_f32_16x16x32_bf16 v[68:71], v[76:79], a[100:103], v[68:71]// 000000005DF8: D3B50044 1512C94C
	v_permlane16_swap_b32_e32 v120, v122                       // 000000005E00: 7EF0B37A
	v_permlane16_swap_b32_e32 v121, v123                       // 000000005E04: 7EF2B37B
	v_mfma_f32_16x16x32_bf16 v[68:71], v[80:83], a[104:107], v[68:71]// 000000005E08: D3B50044 1512D150
	ds_read_b64_tr_b16 v[240:241], v13 offset:4096             // 000000005E10: D9C61000 F000000D
	ds_read_b64_tr_b16 v[242:243], v13 offset:4352             // 000000005E18: D9C61100 F200000D
	ds_read_b64_tr_b16 v[244:245], v13 offset:5120             // 000000005E20: D9C61400 F400000D
	ds_read_b64_tr_b16 v[246:247], v13 offset:5376             // 000000005E28: D9C61500 F600000D
	v_mfma_f32_16x16x32_bf16 v[68:71], v[84:87], a[108:111], v[68:71]// 000000005E30: D3B50044 1512D954
	v_cvt_pk_bf16_f32 v124, v44, v45                           // 000000005E38: D268007C 00025B2C
	v_cvt_pk_bf16_f32 v125, v46, v47                           // 000000005E40: D268007D 00025F2E
	buffer_atomic_add_f32 v111, v10, s[32:35], 0 offen         // 000000005E48: E1341000 80086F0A
	s_waitcnt lgkmcnt(12)                                      // 000000005E50: BF8CCC7F
	v_mfma_f32_32x32x16_bf16 v[128:143], v[88:91], v[120:123], v[128:143]// 000000005E54: D3B70080 0602F158
	ds_read_b64_tr_b16 a[0:1], v19                             // 000000005E5C: DBC60000 00000013
	ds_read_b64_tr_b16 a[2:3], v19 offset:256                  // 000000005E64: DBC60100 02000013
	ds_read_b64_tr_b16 a[4:5], v19 offset:12288                // 000000005E6C: DBC63000 04000013
	ds_read_b64_tr_b16 a[6:7], v19 offset:12544                // 000000005E74: DBC63100 06000013
	ds_read_b64_tr_b16 a[8:9], v19 offset:24576                // 000000005E7C: DBC66000 08000013
	buffer_atomic_add_f32 v112, v7, s[32:35], 0 offen offset:64// 000000005E84: E1341040 80087007
	v_mfma_f32_32x32x16_bf16 v[144:159], v[92:95], v[120:123], v[144:159]// 000000005E8C: D3B70090 0642F15C
	v_subrev_f32_dpp v60, v126, v60 quad_perm:[0,0,0,0] row_mask:0xf bank_mask:0xf// 000000005E94: 067878FA FF00007E
	v_subrev_f32_dpp v61, v126, v61 quad_perm:[1,1,1,1] row_mask:0xf bank_mask:0xf// 000000005E9C: 067A7AFA FF00557E
	v_subrev_f32_dpp v62, v126, v62 quad_perm:[2,2,2,2] row_mask:0xf bank_mask:0xf// 000000005EA4: 067C7CFA FF00AA7E
	v_subrev_f32_dpp v63, v126, v63 quad_perm:[3,3,3,3] row_mask:0xf bank_mask:0xf// 000000005EAC: 067E7EFA FF00FF7E
	v_subrev_f32_dpp v64, v126, v64 quad_perm:[0,0,0,0] row_mask:0xf bank_mask:0xf// 000000005EB4: 068080FA FF00007E
	v_subrev_f32_dpp v65, v126, v65 quad_perm:[1,1,1,1] row_mask:0xf bank_mask:0xf// 000000005EBC: 068282FA FF00557E
	v_subrev_f32_dpp v66, v126, v66 quad_perm:[2,2,2,2] row_mask:0xf bank_mask:0xf// 000000005EC4: 068484FA FF00AA7E
	v_subrev_f32_dpp v67, v126, v67 quad_perm:[3,3,3,3] row_mask:0xf bank_mask:0xf// 000000005ECC: 068686FA FF00FF7E
	v_mul_f32_e32 v60, v36, v60                                // 000000005ED4: 0A787924
	v_mul_f32_e32 v61, v37, v61                                // 000000005ED8: 0A7A7B25
	v_mul_f32_e32 v62, v38, v62                                // 000000005EDC: 0A7C7D26
	v_mul_f32_e32 v63, v39, v63                                // 000000005EE0: 0A7E7F27
	v_mfma_f32_32x32x16_bf16 v[160:175], v[96:99], v[120:123], v[160:175]// 000000005EE4: D3B700A0 0682F160
	ds_read_b64_tr_b16 a[10:11], v19 offset:24832              // 000000005EEC: DBC66100 0A000013
	ds_read_b64_tr_b16 a[12:13], v19 offset:36864              // 000000005EF4: DBC69000 0C000013
	ds_read_b64_tr_b16 a[14:15], v19 offset:37120              // 000000005EFC: DBC69100 0E000013
	ds_read_b64_tr_b16 a[16:17], v19 offset:49152              // 000000005F04: DBC6C000 10000013
	ds_read_b64_tr_b16 a[18:19], v19 offset:49408              // 000000005F0C: DBC6C100 12000013
	ds_read_b32 v104, v16 offset:38144                         // 000000005F14: D86C9500 68000010
	v_mfma_f32_32x32x16_bf16 v[176:191], v[100:103], v[120:123], v[176:191]// 000000005F1C: D3B700B0 06C2F164
	v_mul_f32_e32 v64, v40, v64                                // 000000005F24: 0A808128
	v_mul_f32_e32 v65, v41, v65                                // 000000005F28: 0A828329
	v_mul_f32_e32 v66, v42, v66                                // 000000005F2C: 0A84852A
	v_mul_f32_e32 v67, v43, v67                                // 000000005F30: 0A86872B
	v_permlane16_swap_b32_e32 v88, v90                         // 000000005F34: 7EB0B35A
	v_permlane16_swap_b32_e32 v89, v91                         // 000000005F38: 7EB2B35B
	v_cvt_pk_bf16_f32 v60, v60, v61                            // 000000005F3C: D268003C 00027B3C
	v_cvt_pk_bf16_f32 v61, v62, v63                            // 000000005F44: D268003D 00027F3E
	v_cvt_pk_bf16_f32 v62, v64, v65                            // 000000005F4C: D268003E 00028340
	v_cvt_pk_bf16_f32 v63, v66, v67                            // 000000005F54: D268003F 00028742
	v_permlane16_swap_b32_e32 v92, v94                         // 000000005F5C: 7EB8B35E
	v_permlane16_swap_b32_e32 v93, v95                         // 000000005F60: 7EBAB35F
	v_mfma_f32_16x16x16_bf16 v[192:195], v[88:89], v[124:125], v[192:195]// 000000005F64: D3E100C0 0702F958
	buffer_atomic_add_f32 v113, v8, s[32:35], 0 offen offset:64// 000000005F6C: E1341040 80087108
	ds_write_b64 v15, v[60:61] offset:30720                    // 000000005F74: D89A7800 00003C0F
	ds_write_b64 v15, v[62:63] offset:33024                    // 000000005F7C: D89A8100 00003E0F
	v_mfma_f32_16x16x16_bf16 v[196:199], v[90:91], v[124:125], v[196:199]// 000000005F84: D3E100C4 0712F95A
	v_permlane16_swap_b32_e32 v96, v98                         // 000000005F8C: 7EC0B362
	v_permlane16_swap_b32_e32 v97, v99                         // 000000005F90: 7EC2B363
	v_subrev_f32_dpp v68, v126, v68 quad_perm:[0,0,0,0] row_mask:0xf bank_mask:0xf// 000000005F94: 068888FA FF00007E
	v_subrev_f32_dpp v69, v126, v69 quad_perm:[1,1,1,1] row_mask:0xf bank_mask:0xf// 000000005F9C: 068A8AFA FF00557E
	v_mfma_f32_16x16x16_bf16 v[200:203], v[92:93], v[124:125], v[200:203]// 000000005FA4: D3E100C8 0722F95C
	v_permlane16_swap_b32_e32 v100, v102                       // 000000005FAC: 7EC8B366
	v_permlane16_swap_b32_e32 v101, v103                       // 000000005FB0: 7ECAB367
	v_subrev_f32_dpp v70, v126, v70 quad_perm:[2,2,2,2] row_mask:0xf bank_mask:0xf// 000000005FB4: 068C8CFA FF00AA7E
	v_subrev_f32_dpp v71, v126, v71 quad_perm:[3,3,3,3] row_mask:0xf bank_mask:0xf// 000000005FBC: 068E8EFA FF00FF7E
	v_mfma_f32_16x16x16_bf16 v[204:207], v[94:95], v[124:125], v[204:207]// 000000005FC4: D3E100CC 0732F95E
	v_permlane16_swap_b32_e32 v60, v62                         // 000000005FCC: 7E78B33E
	v_permlane16_swap_b32_e32 v61, v63                         // 000000005FD0: 7E7AB33F
	v_mfma_f32_16x16x16_bf16 v[208:211], v[96:97], v[124:125], v[208:211]// 000000005FD4: D3E100D0 0742F960
	ds_read_b64_tr_b16 a[20:21], v19 offset:61440              // 000000005FDC: DBC6F000 14000013
	ds_read_b64_tr_b16 a[22:23], v19 offset:61696              // 000000005FE4: DBC6F100 16000013
	ds_read_b64_tr_b16 a[24:25], v20                           // 000000005FEC: DBC60000 18000014
	v_mfma_f32_16x16x16_bf16 v[212:215], v[98:99], v[124:125], v[212:215]// 000000005FF4: D3E100D4 0752F962
	v_mul_f32_e32 v68, v44, v68                                // 000000005FFC: 0A88892C
	v_mul_f32_e32 v69, v45, v69                                // 000000006000: 0A8A8B2D
	v_mul_f32_e32 v70, v46, v70                                // 000000006004: 0A8C8D2E
	v_mfma_f32_16x16x16_bf16 v[216:219], v[100:101], v[124:125], v[216:219]// 000000006008: D3E100D8 0762F964
	ds_read_b32 v126, v16 offset:38400                         // 000000006010: D86C9600 7E000010
	ds_read_b64_tr_b16 a[26:27], v20 offset:256                // 000000006018: DBC60100 1A000014
	ds_read_b64_tr_b16 a[28:29], v20 offset:12288              // 000000006020: DBC63000 1C000014
	v_mfma_f32_16x16x16_bf16 v[220:223], v[102:103], v[124:125], v[220:223]// 000000006028: D3E100DC 0772F966
	v_mul_f32_e32 v71, v47, v71                                // 000000006030: 0A8E8F2F
	v_cvt_pk_bf16_f32 v64, v68, v69                            // 000000006034: D2680040 00028B44
	v_cvt_pk_bf16_f32 v65, v70, v71                            // 00000000603C: D2680041 00028F46
	s_waitcnt lgkmcnt(8)                                       // 000000006044: BF8CC87F
	v_mfma_f32_32x32x16_bf16 a[112:127], v[224:227], v[60:63], a[112:127]// 000000006048: D3B78070 05C279E0
	ds_read_b64_tr_b16 a[30:31], v20 offset:12544              // 000000006050: DBC63100 1E000014
	ds_write_b64 v15, v[64:65] offset:35328                    // 000000006058: D89A8A00 0000400F
	ds_read_b64_tr_b16 a[32:33], v20 offset:24576              // 000000006060: DBC66000 20000014
	ds_read_b64_tr_b16 a[34:35], v20 offset:24832              // 000000006068: DBC66100 22000014
	v_mfma_f32_32x32x16_bf16 a[128:143], v[228:231], v[60:63], a[128:143]// 000000006070: D3B78080 060279E4
	v_mul_f32_e32 v104, s48, v104                              // 000000006078: 0AD0D030
	buffer_atomic_add_f32 v114, v9, s[32:35], 0 offen offset:64// 00000000607C: E1341040 80087209
	v_mfma_f32_32x32x16_bf16 a[144:159], v[232:235], v[60:63], a[144:159]// 000000006084: D3B78090 064279E8
	ds_read_b64_tr_b16 a[36:37], v20 offset:36864              // 00000000608C: DBC69000 24000014
	ds_read_b64_tr_b16 a[38:39], v20 offset:37120              // 000000006094: DBC69100 26000014
	ds_read_b64_tr_b16 a[40:41], v20 offset:49152              // 00000000609C: DBC6C000 28000014
	ds_read_b64_tr_b16 a[42:43], v20 offset:49408              // 0000000060A4: DBC6C100 2A000014
	ds_read_b64_tr_b16 a[44:45], v20 offset:61440              // 0000000060AC: DBC6F000 2C000014
	ds_read_b64_tr_b16 a[46:47], v20 offset:61696              // 0000000060B4: DBC6F100 2E000014
	v_mfma_f32_32x32x16_bf16 a[160:175], v[236:239], v[60:63], a[160:175]// 0000000060BC: D3B780A0 068279EC
	.long 0x7fc0b3e2                                           // 0000000060C4: 7FC0B3E2
	.long 0x7fc2b3e3                                           // 0000000060C8: 7FC2B3E3
	buffer_atomic_add_f32 v115, v10, s[32:35], 0 offen offset:64// 0000000060CC: E1341040 8008730A
	s_waitcnt lgkmcnt(8)                                       // 0000000060D4: BF8CC87F
	s_barrier                                                  // 0000000060D8: BF8A0000
	v_mfma_f32_32x32x16_bf16 a[176:191], v[240:243], v[60:63], a[176:191]// 0000000060DC: D3B780B0 06C279F0
	ds_read_b64_tr_b16 v[36:37], v14 offset:30720              // 0000000060E4: D9C67800 2400000E
	ds_read_b64_tr_b16 v[38:39], v14 offset:30752              // 0000000060EC: D9C67820 2600000E
	ds_read_b64_tr_b16 v[40:41], v14 offset:31872              // 0000000060F4: D9C67C80 2800000E
	ds_read_b64_tr_b16 v[42:43], v14 offset:31904              // 0000000060FC: D9C67CA0 2A00000E
	ds_read_b64_tr_b16 v[44:45], v14 offset:33024              // 000000006104: D9C68100 2C00000E
	ds_read_b64_tr_b16 v[46:47], v14 offset:33056              // 00000000610C: D9C68120 2E00000E
	v_mfma_f32_32x32x16_bf16 a[192:207], v[244:247], v[60:63], a[192:207]// 000000006114: D3B780C0 070279F4
	.long 0x7fc8b3e6                                           // 00000000611C: 7FC8B3E6
	.long 0x7fcab3e7                                           // 000000006120: 7FCAB3E7
	v_mov_b32_dpp v107, v104 quad_perm:[3,3,3,3] row_mask:0xf bank_mask:0xf// 000000006124: 7ED602FA FF00FF68
	v_mov_b32_dpp v106, v104 quad_perm:[2,2,2,2] row_mask:0xf bank_mask:0xf// 00000000612C: 7ED402FA FF00AA68
	buffer_atomic_add_f32 v116, v7, s[32:35], 0 offen offset:128// 000000006134: E1341080 80087407
	v_mfma_f32_16x16x16_bf16 a[208:211], v[224:225], v[64:65], a[208:211]// 00000000613C: D3E180D0 074281E0
	ds_read_b64_tr_b16 v[48:49], v14 offset:34176              // 000000006144: D9C68580 3000000E
	ds_read_b64_tr_b16 v[50:51], v14 offset:34208              // 00000000614C: D9C685A0 3200000E
	ds_read_b64_tr_b16 v[52:53], v14 offset:35328              // 000000006154: D9C68A00 3400000E
	v_mfma_f32_16x16x16_bf16 a[212:215], v[226:227], v[64:65], a[212:215]// 00000000615C: D3E180D4 075281E2
	.long 0x7fd0b3ea                                           // 000000006164: 7FD0B3EA
	.long 0x7fd2b3eb                                           // 000000006168: 7FD2B3EB
	v_mfma_f32_16x16x16_bf16 a[216:219], v[228:229], v[64:65], a[216:219]// 00000000616C: D3E180D8 076281E4
	ds_read_b64_tr_b16 v[54:55], v14 offset:35360              // 000000006174: D9C68A20 3600000E
	ds_read_b64_tr_b16 v[56:57], v14 offset:36480              // 00000000617C: D9C68E80 3800000E
	ds_read_b64_tr_b16 v[58:59], v14 offset:36512              // 000000006184: D9C68EA0 3A00000E
	v_mfma_f32_16x16x16_bf16 a[220:223], v[230:231], v[64:65], a[220:223]// 00000000618C: D3E180DC 077281E6
	v_permlane16_swap_b32_e32 v236, v238                       // 000000006194: 7FD8B3EE
	v_permlane16_swap_b32_e32 v237, v239                       // 000000006198: 7FDAB3EF
	buffer_atomic_add_f32 v117, v8, s[32:35], 0 offen offset:128// 00000000619C: E1341080 80087508
	v_mfma_f32_16x16x16_bf16 a[224:227], v[232:233], v[64:65], a[224:227]// 0000000061A4: D3E180E0 078281E8
	ds_read_b64_tr_b16 a[48:49], v21                           // 0000000061AC: DBC60000 30000015
	ds_read_b64_tr_b16 a[50:51], v21 offset:256                // 0000000061B4: DBC60100 32000015
	ds_read_b64_tr_b16 a[52:53], v21 offset:12288              // 0000000061BC: DBC63000 34000015
	v_mfma_f32_16x16x16_bf16 a[228:231], v[234:235], v[64:65], a[228:231]// 0000000061C4: D3E180E4 079281EA
	v_permlane16_swap_b32_e32 v240, v242                       // 0000000061CC: 7FE0B3F2
	v_permlane16_swap_b32_e32 v241, v243                       // 0000000061D0: 7FE2B3F3
	v_mfma_f32_16x16x16_bf16 a[232:235], v[236:237], v[64:65], a[232:235]// 0000000061D4: D3E180E8 07A281EC
	ds_read_b64_tr_b16 a[54:55], v21 offset:12544              // 0000000061DC: DBC63100 36000015
	ds_read_b64_tr_b16 a[56:57], v21 offset:24576              // 0000000061E4: DBC66000 38000015
	ds_read_b64_tr_b16 a[58:59], v21 offset:24832              // 0000000061EC: DBC66100 3A000015
	v_mfma_f32_16x16x16_bf16 a[236:239], v[238:239], v[64:65], a[236:239]// 0000000061F4: D3E180EC 07B281EE
	v_permlane16_swap_b32_e32 v244, v246                       // 0000000061FC: 7FE8B3F6
	v_permlane16_swap_b32_e32 v245, v247                       // 000000006200: 7FEAB3F7
	v_mfma_f32_16x16x16_bf16 a[240:243], v[240:241], v[64:65], a[240:243]// 000000006204: D3E180F0 07C281F0
	ds_read_b64_tr_b16 a[60:61], v21 offset:36864              // 00000000620C: DBC69000 3C000015
	ds_read_b64_tr_b16 a[62:63], v21 offset:37120              // 000000006214: DBC69100 3E000015
	ds_read_b64_tr_b16 v[248:249], v21 offset:49152            // 00000000621C: D9C6C000 F8000015
	v_mfma_f32_16x16x16_bf16 a[244:247], v[242:243], v[64:65], a[244:247]// 000000006224: D3E180F4 07D281F2
	v_mov_b32_dpp v105, v104 quad_perm:[1,1,1,1] row_mask:0xf bank_mask:0xf// 00000000622C: 7ED202FA FF005568
	buffer_atomic_add_f32 v118, v9, s[32:35], 0 offen offset:128// 000000006234: E1341080 80087609
	v_mfma_f32_16x16x16_bf16 a[248:251], v[244:245], v[64:65], a[248:251]// 00000000623C: D3E180F8 07E281F4
	ds_read_b64_tr_b16 v[250:251], v21 offset:49408            // 000000006244: D9C6C100 FA000015
	ds_read_b64_tr_b16 v[252:253], v21 offset:61440            // 00000000624C: D9C6F000 FC000015
	ds_read_b64_tr_b16 v[254:255], v21 offset:61696            // 000000006254: D9C6F100 FE000015
	v_mfma_f32_16x16x16_bf16 a[252:255], v[246:247], v[64:65], a[252:255]// 00000000625C: D3E180FC 07F281F6
	v_mov_b32_dpp v104, v104 quad_perm:[0,0,0,0] row_mask:0xf bank_mask:0xf// 000000006264: 7ED002FA FF000068
	buffer_atomic_add_f32 v119, v10, s[32:35], 0 offen offset:128// 00000000626C: E1341080 8008770A
	s_waitcnt vmcnt(12) lgkmcnt(6)                             // 000000006274: BF8C067C
	s_barrier                                                  // 000000006278: BF8A0000
	v_mfma_f32_16x16x32_bf16 v[108:111], v[36:39], a[0:3], 0   // 00000000627C: D3B5006C 12020124
	ds_read_b128 v[224:227], v12 offset:6144                   // 000000006284: D9FE1800 E000000C
	ds_read_b128 v[228:231], v12 offset:7168                   // 00000000628C: D9FE1C00 E400000C
	v_mfma_f32_16x16x32_bf16 v[108:111], v[40:43], a[4:7], v[108:111]// 000000006294: D3B5006C 15B20928
	s_mov_b32 m0, s81                                          // 00000000629C: BEFC0051
	buffer_load_dwordx4 v1, s[8:11], 0 idxen lds               // 0000000062A0: E05D2000 80020001
	v_mfma_f32_16x16x32_bf16 v[108:111], v[44:47], a[8:11], v[108:111]// 0000000062A8: D3B5006C 15B2112C
	ds_read_b128 v[232:235], v12 offset:8192                   // 0000000062B0: D9FE2000 E800000C
	ds_read_b128 v[236:239], v12 offset:9216                   // 0000000062B8: D9FE2400 EC00000C
	v_mfma_f32_16x16x32_bf16 v[108:111], v[48:51], a[12:15], v[108:111]// 0000000062C0: D3B5006C 15B21930
	s_mov_b32 m0, s82                                          // 0000000062C8: BEFC0052
	buffer_load_dword v2, s[8:11], 0 idxen lds                 // 0000000062CC: E0512000 80020002
	v_mfma_f32_16x16x32_bf16 v[108:111], v[52:55], a[16:19], v[108:111]// 0000000062D4: D3B5006C 15B22134
	ds_read_b128 v[240:243], v12 offset:10240                  // 0000000062DC: D9FE2800 F000000C
	ds_read_b128 v[244:247], v12 offset:11264                  // 0000000062E4: D9FE2C00 F400000C
	v_mfma_f32_16x16x32_bf16 v[108:111], v[56:59], a[20:23], v[108:111]// 0000000062EC: D3B5006C 15B22938
	s_mov_b32 m0, s83                                          // 0000000062F4: BEFC0053
	buffer_load_dword v3, s[8:11], 0 idxen lds                 // 0000000062F8: E0512000 80020003
	v_mfma_f32_16x16x32_bf16 v[112:115], v[36:39], a[24:27], 0 // 000000006300: D3B50070 12023124
	ds_read_b128 a[0:3], v17                                   // 000000006308: DBFE0000 00000011
	ds_read_b128 a[4:7], v17 offset:1024                       // 000000006310: DBFE0400 04000011
	v_mfma_f32_16x16x32_bf16 v[112:115], v[40:43], a[28:31], v[112:115]// 000000006318: D3B50070 15C23928
	s_mov_b32 m0, s90                                          // 000000006320: BEFC005A
	buffer_load_dwordx4 v4, s[20:23], 0 idxen lds              // 000000006324: E05D2000 80050004
	v_mfma_f32_16x16x32_bf16 v[112:115], v[44:47], a[32:35], v[112:115]// 00000000632C: D3B50070 15C2412C
	ds_read_b128 a[8:11], v17 offset:2048                      // 000000006334: DBFE0800 08000011
	ds_read_b128 a[12:15], v17 offset:3072                     // 00000000633C: DBFE0C00 0C000011
	v_mfma_f32_16x16x32_bf16 v[112:115], v[48:51], a[36:39], v[112:115]// 000000006344: D3B50070 15C24930
	v_mul_f32_e32 v108, s47, v108                              // 00000000634C: 0AD8D82F
	v_mul_f32_e32 v109, s47, v109                              // 000000006350: 0ADADA2F
	s_mov_b32 m0, s78                                          // 000000006354: BEFC004E
	buffer_load_dword v11, s[24:27], 0 idxen lds               // 000000006358: E0512000 8006000B
	v_mfma_f32_16x16x32_bf16 v[112:115], v[52:55], a[40:43], v[112:115]// 000000006360: D3B50070 15C25134
	ds_read_b128 a[16:19], v17 offset:4096                     // 000000006368: DBFE1000 10000011
	ds_read_b128 a[20:23], v17 offset:5120                     // 000000006370: DBFE1400 14000011
	v_mfma_f32_16x16x32_bf16 v[112:115], v[56:59], a[44:47], v[112:115]// 000000006378: D3B50070 15C25938
	s_add_u32 s60, 64, s59                                     // 000000006380: 803C3BC0
	s_cmp_lt_u32 s60, s58                                      // 000000006384: BF0A3A3C
	s_cselect_b32 s68, s68, 0                                  // 000000006388: 85448044
	s_cselect_b32 s101, s101, 0                                // 00000000638C: 85658065
	s_cselect_b32 s69, s69, 0                                  // 000000006390: 85458045
	v_mfma_f32_16x16x32_bf16 v[116:119], v[36:39], a[48:51], 0 // 000000006394: D3B50074 12026124
	ds_read_b128 a[24:27], v17 offset:24576                    // 00000000639C: DBFE6000 18000011
	ds_read_b128 a[28:31], v17 offset:25600                    // 0000000063A4: DBFE6400 1C000011
	v_mfma_f32_16x16x32_bf16 v[116:119], v[40:43], a[52:55], v[116:119]// 0000000063AC: D3B50074 15D26928
	v_add_u32_e32 v1, s68, v1                                  // 0000000063B4: 68020244
	v_add_u32_e32 v2, s68, v2                                  // 0000000063B8: 68040444
	v_add_u32_e32 v3, s68, v3                                  // 0000000063BC: 68060644
	v_add_u32_e32 v4, s101, v4                                 // 0000000063C0: 68080865
	v_add_u32_e32 v11, s69, v11                                // 0000000063C4: 68161645
	s_waitcnt lgkmcnt(14)                                      // 0000000063C8: BF8CCE7F
	v_mfma_f32_16x16x32_bf16 v[116:119], v[44:47], a[56:59], v[116:119]// 0000000063CC: D3B50074 15D2712C
	ds_read_b128 a[32:35], v17 offset:26624                    // 0000000063D4: DBFE6800 20000011
	ds_read_b128 a[36:39], v17 offset:27648                    // 0000000063DC: DBFE6C00 24000011
	v_mfma_f32_16x16x32_bf16 v[116:119], v[48:51], a[60:63], v[116:119]// 0000000063E4: D3B50074 15D27930
	v_mul_f32_e32 v110, s47, v110                              // 0000000063EC: 0ADCDC2F
	v_mul_f32_e32 v111, s47, v111                              // 0000000063F0: 0ADEDE2F
	s_cmp_ge_u32 s59, s73                                      // 0000000063F4: BF09493B
	s_cselect_b32 s66, s67, s66                                // 0000000063F8: 85424243
	v_mfma_f32_16x16x32_bf16 v[116:119], v[52:55], v[248:251], v[116:119]// 0000000063FC: D3B50074 05D3F134
	ds_read_b128 a[40:43], v17 offset:28672                    // 000000006404: DBFE7000 28000011
	ds_read_b128 a[44:47], v17 offset:29696                    // 00000000640C: DBFE7400 2C000011
	v_mfma_f32_16x16x32_bf16 v[116:119], v[56:59], v[252:255], v[116:119]// 000000006414: D3B50074 05D3F938
	s_addk_i32 s59, 0x10                                       // 00000000641C: B73B0010
	v_mul_f32_e32 v112, s47, v112                              // 000000006420: 0AE0E02F
	v_mul_f32_e32 v113, s47, v113                              // 000000006424: 0AE2E22F
	s_cmp_lt_i32 s59, s58                                      // 000000006428: BF043A3B
	s_cbranch_scc0 label_0F20                                  // 00000000642C: BF840605
	s_waitcnt lgkmcnt(2)                                       // 000000006430: BF8CC27F
	v_mfma_f32_16x16x32_bf16 v[36:39], v[224:227], a[0:3], 0   // 000000006434: D3B50024 120201E0
	ds_read_b128 a[48:51], v17 offset:49152                    // 00000000643C: DBFEC000 30000011
	ds_read_b128 a[52:55], v17 offset:50176                    // 000000006444: DBFEC400 34000011
	v_mfma_f32_16x16x32_bf16 v[36:39], v[228:231], a[4:7], v[36:39]// 00000000644C: D3B50024 149209E4
	v_add_u32_e32 v7, s66, v7                                  // 000000006454: 680E0E42
	v_add_u32_e32 v8, s66, v8                                  // 000000006458: 68101042
	v_mfma_f32_16x16x32_bf16 v[36:39], v[232:235], a[8:11], v[36:39]// 00000000645C: D3B50024 149211E8
	ds_read_b128 a[56:59], v17 offset:51200                    // 000000006464: DBFEC800 38000011
	ds_read_b128 a[60:63], v17 offset:52224                    // 00000000646C: DBFECC00 3C000011
	v_mfma_f32_16x16x32_bf16 v[36:39], v[236:239], a[12:15], v[36:39]// 000000006474: D3B50024 149219EC
	v_add_u32_e32 v9, s66, v9                                  // 00000000647C: 68121242
	v_add_u32_e32 v10, s66, v10                                // 000000006480: 68141442
	v_mfma_f32_16x16x32_bf16 v[36:39], v[240:243], a[16:19], v[36:39]// 000000006484: D3B50024 149221F0
	ds_read_b128 v[248:251], v17 offset:53248                  // 00000000648C: D9FED000 F8000011
	ds_read_b128 v[252:255], v17 offset:54272                  // 000000006494: D9FED400 FC000011
	v_mfma_f32_16x16x32_bf16 v[36:39], v[244:247], a[20:23], v[36:39]// 00000000649C: D3B50024 149229F4
	v_mul_f32_e32 v114, s47, v114                              // 0000000064A4: 0AE4E42F
	v_mul_f32_e32 v115, s47, v115                              // 0000000064A8: 0AE6E62F
	v_mfma_f32_16x16x32_bf16 v[40:43], v[224:227], a[24:27], 0 // 0000000064AC: D3B50028 120231E0
	ds_read_b128 v[72:75], v12 offset:22528                    // 0000000064B4: D9FE5800 4800000C
	ds_read_b128 v[76:79], v12 offset:23552                    // 0000000064BC: D9FE5C00 4C00000C
	v_mfma_f32_16x16x32_bf16 v[40:43], v[228:231], a[28:31], v[40:43]// 0000000064C4: D3B50028 14A239E4
	v_mul_f32_e32 v116, s47, v116                              // 0000000064CC: 0AE8E82F
	v_mul_f32_e32 v117, s47, v117                              // 0000000064D0: 0AEAEA2F
	v_mfma_f32_16x16x32_bf16 v[40:43], v[232:235], a[32:35], v[40:43]// 0000000064D4: D3B50028 14A241E8
	ds_read_b128 v[80:83], v12 offset:24576                    // 0000000064DC: D9FE6000 5000000C
	ds_read_b128 v[84:87], v12 offset:25600                    // 0000000064E4: D9FE6400 5400000C
	v_mfma_f32_16x16x32_bf16 v[40:43], v[236:239], a[36:39], v[40:43]// 0000000064EC: D3B50028 14A249EC
	v_mul_f32_e32 v118, s47, v118                              // 0000000064F4: 0AECEC2F
	v_mul_f32_e32 v119, s47, v119                              // 0000000064F8: 0AEEEE2F
	buffer_atomic_add_f32 v108, v7, s[32:35], 0 offen          // 0000000064FC: E1341000 80086C07
	s_waitcnt lgkmcnt(10)                                      // 000000006504: BF8CCA7F
	v_mfma_f32_16x16x32_bf16 v[40:43], v[240:243], a[40:43], v[40:43]// 000000006508: D3B50028 14A251F0
	ds_read_b64_tr_b16 v[88:89], v13 offset:22528              // 000000006510: D9C65800 5800000D
	ds_read_b64_tr_b16 v[90:91], v13 offset:22784              // 000000006518: D9C65900 5A00000D
	v_mfma_f32_16x16x32_bf16 v[40:43], v[244:247], a[44:47], v[40:43]// 000000006520: D3B50028 14A259F4
	v_fma_f32 v36, v36, s57, -v104                             // 000000006528: D1CB0024 85A07324
	v_fma_f32 v37, v37, s57, -v105                             // 000000006530: D1CB0025 85A47325
	s_waitcnt lgkmcnt(10)                                      // 000000006538: BF8CCA7F
	v_mfma_f32_16x16x32_bf16 v[44:47], v[224:227], a[48:51], 0 // 00000000653C: D3B5002C 120261E0
	ds_read_b64_tr_b16 v[92:93], v13 offset:23552              // 000000006544: D9C65C00 5C00000D
	ds_read_b64_tr_b16 v[94:95], v13 offset:23808              // 00000000654C: D9C65D00 5E00000D
	v_mfma_f32_16x16x32_bf16 v[44:47], v[228:231], a[52:55], v[44:47]// 000000006554: D3B5002C 14B269E4
	v_fma_f32 v38, v38, s57, -v106                             // 00000000655C: D1CB0026 85A87326
	v_fma_f32 v39, v39, s57, -v107                             // 000000006564: D1CB0027 85AC7327
	s_waitcnt lgkmcnt(10)                                      // 00000000656C: BF8CCA7F
	v_mfma_f32_16x16x32_bf16 v[44:47], v[232:235], a[56:59], v[44:47]// 000000006570: D3B5002C 14B271E8
	ds_read_b64_tr_b16 v[96:97], v13 offset:24576              // 000000006578: D9C66000 6000000D
	ds_read_b64_tr_b16 v[98:99], v13 offset:24832              // 000000006580: D9C66100 6200000D
	v_mfma_f32_16x16x32_bf16 v[44:47], v[236:239], a[60:63], v[44:47]// 000000006588: D3B5002C 14B279EC
	v_fma_f32 v40, v40, s57, -v104                             // 000000006590: D1CB0028 85A07328
	v_fma_f32 v41, v41, s57, -v105                             // 000000006598: D1CB0029 85A47329
	buffer_atomic_add_f32 v109, v8, s[32:35], 0 offen          // 0000000065A0: E1341000 80086D08
	s_waitcnt lgkmcnt(10)                                      // 0000000065A8: BF8CCA7F
	v_mfma_f32_16x16x32_bf16 v[44:47], v[240:243], v[248:251], v[44:47]// 0000000065AC: D3B5002C 04B3F1F0
	ds_read_b64_tr_b16 v[100:101], v13 offset:25600            // 0000000065B4: D9C66400 6400000D
	ds_read_b64_tr_b16 v[102:103], v13 offset:25856            // 0000000065BC: D9C66500 6600000D
	v_mfma_f32_16x16x32_bf16 v[44:47], v[244:247], v[252:255], v[44:47]// 0000000065C4: D3B5002C 04B3F9F4
	v_fma_f32 v42, v42, s57, -v106                             // 0000000065CC: D1CB002A 85A8732A
	v_fma_f32 v43, v43, s57, -v107                             // 0000000065D4: D1CB002B 85AC732B
	s_cmp_lt_i32 s74, 12                                       // 0000000065DC: BF048C4A
	s_cbranch_scc0 label_09F3                                  // 0000000065E0: BF840075
	s_mov_b32 s60, 0xffe0fffe                                  // 0000000065E4: BEBC00FF FFE0FFFE
	s_mov_b32 s61, 0xe000fe00                                  // 0000000065EC: BEBD00FF E000FE00
	s_nop 0                                                    // 0000000065F4: BF800000
	s_add_u32 s62, 0, s46                                      // 0000000065F8: 803E2E80
	s_cmp_lt_i32 s74, s62                                      // 0000000065FC: BF043E4A
	s_cbranch_scc1 label_09AE                                  // 000000006600: BF850028
	s_cmp_eq_i32 s74, s62                                      // 000000006604: BF003E4A
	s_cbranch_scc1 label_0993                                  // 000000006608: BF85000B
	s_add_u32 s62, 4, s46                                      // 00000000660C: 803E2E84
	s_cmp_lt_i32 s74, s62                                      // 000000006610: BF043E4A
	s_cbranch_scc1 label_09CE                                  // 000000006614: BF850043
	s_cmp_eq_i32 s74, s62                                      // 000000006618: BF003E4A
	s_cbranch_scc1 label_09B3                                  // 00000000661C: BF850026
	s_add_u32 s62, 8, s46                                      // 000000006620: 803E2E88
	s_cmp_lt_i32 s74, s62                                      // 000000006624: BF043E4A
	s_cbranch_scc1 label_09EE                                  // 000000006628: BF85005E
	s_cmp_eq_i32 s74, s62                                      // 00000000662C: BF003E4A
	s_cbranch_scc1 label_09D3                                  // 000000006630: BF850041
	s_branch label_09F3                                        // 000000006634: BF820060

0000000000006638 <label_0993>:
	v_cndmask_b32_e64 v36, v36, v127, s[60:61]                 // 000000006638: D1000024 00F2FF24
	s_lshl_b32 s60, s60, 1                                     // 000000006640: 8E3C813C
	s_lshl_b32 s61, s61, 1                                     // 000000006644: 8E3D813D
	s_and_b32 s60, 0xfffeffff, s60                             // 000000006648: 863C3CFF FFFEFFFF
	s_and_b32 s61, 0xfffeffff, s61                             // 000000006650: 863D3DFF FFFEFFFF
	v_cndmask_b32_e64 v37, v37, v127, s[60:61]                 // 000000006658: D1000025 00F2FF25
	s_lshl_b32 s60, s60, 1                                     // 000000006660: 8E3C813C
	s_lshl_b32 s61, s61, 1                                     // 000000006664: 8E3D813D
	s_and_b32 s60, 0xfffeffff, s60                             // 000000006668: 863C3CFF FFFEFFFF
	s_and_b32 s61, 0xfffeffff, s61                             // 000000006670: 863D3DFF FFFEFFFF
	v_cndmask_b32_e64 v38, v38, v127, s[60:61]                 // 000000006678: D1000026 00F2FF26
	s_lshl_b32 s60, s60, 1                                     // 000000006680: 8E3C813C
	s_lshl_b32 s61, s61, 1                                     // 000000006684: 8E3D813D
	s_and_b32 s60, 0xfffeffff, s60                             // 000000006688: 863C3CFF FFFEFFFF
	s_and_b32 s61, 0xfffeffff, s61                             // 000000006690: 863D3DFF FFFEFFFF
	v_cndmask_b32_e64 v39, v39, v127, s[60:61]                 // 000000006698: D1000027 00F2FF27
	s_branch label_09CE                                        // 0000000066A0: BF820020

00000000000066a4 <label_09AE>:
	v_mov_b32_e32 v36, v127                                    // 0000000066A4: 7E48037F
	v_mov_b32_e32 v37, v127                                    // 0000000066A8: 7E4A037F
	v_mov_b32_e32 v38, v127                                    // 0000000066AC: 7E4C037F
	v_mov_b32_e32 v39, v127                                    // 0000000066B0: 7E4E037F
	s_branch label_09CE                                        // 0000000066B4: BF82001B

00000000000066b8 <label_09B3>:
	v_cndmask_b32_e64 v40, v40, v127, s[60:61]                 // 0000000066B8: D1000028 00F2FF28
	s_lshl_b32 s60, s60, 1                                     // 0000000066C0: 8E3C813C
	s_lshl_b32 s61, s61, 1                                     // 0000000066C4: 8E3D813D
	s_and_b32 s60, 0xfffeffff, s60                             // 0000000066C8: 863C3CFF FFFEFFFF
	s_and_b32 s61, 0xfffeffff, s61                             // 0000000066D0: 863D3DFF FFFEFFFF
	v_cndmask_b32_e64 v41, v41, v127, s[60:61]                 // 0000000066D8: D1000029 00F2FF29
	s_lshl_b32 s60, s60, 1                                     // 0000000066E0: 8E3C813C
	s_lshl_b32 s61, s61, 1                                     // 0000000066E4: 8E3D813D
	s_and_b32 s60, 0xfffeffff, s60                             // 0000000066E8: 863C3CFF FFFEFFFF
	s_and_b32 s61, 0xfffeffff, s61                             // 0000000066F0: 863D3DFF FFFEFFFF
	v_cndmask_b32_e64 v42, v42, v127, s[60:61]                 // 0000000066F8: D100002A 00F2FF2A
	s_lshl_b32 s60, s60, 1                                     // 000000006700: 8E3C813C
	s_lshl_b32 s61, s61, 1                                     // 000000006704: 8E3D813D
	s_and_b32 s60, 0xfffeffff, s60                             // 000000006708: 863C3CFF FFFEFFFF
	s_and_b32 s61, 0xfffeffff, s61                             // 000000006710: 863D3DFF FFFEFFFF
	v_cndmask_b32_e64 v43, v43, v127, s[60:61]                 // 000000006718: D100002B 00F2FF2B
	s_branch label_09EE                                        // 000000006720: BF820020

0000000000006724 <label_09CE>:
	v_mov_b32_e32 v40, v127                                    // 000000006724: 7E50037F
	v_mov_b32_e32 v41, v127                                    // 000000006728: 7E52037F
	v_mov_b32_e32 v42, v127                                    // 00000000672C: 7E54037F
	v_mov_b32_e32 v43, v127                                    // 000000006730: 7E56037F
	s_branch label_09EE                                        // 000000006734: BF82001B

0000000000006738 <label_09D3>:
	v_cndmask_b32_e64 v44, v44, v127, s[60:61]                 // 000000006738: D100002C 00F2FF2C
	s_lshl_b32 s60, s60, 1                                     // 000000006740: 8E3C813C
	s_lshl_b32 s61, s61, 1                                     // 000000006744: 8E3D813D
	s_and_b32 s60, 0xfffeffff, s60                             // 000000006748: 863C3CFF FFFEFFFF
	s_and_b32 s61, 0xfffeffff, s61                             // 000000006750: 863D3DFF FFFEFFFF
	v_cndmask_b32_e64 v45, v45, v127, s[60:61]                 // 000000006758: D100002D 00F2FF2D
	s_lshl_b32 s60, s60, 1                                     // 000000006760: 8E3C813C
	s_lshl_b32 s61, s61, 1                                     // 000000006764: 8E3D813D
	s_and_b32 s60, 0xfffeffff, s60                             // 000000006768: 863C3CFF FFFEFFFF
	s_and_b32 s61, 0xfffeffff, s61                             // 000000006770: 863D3DFF FFFEFFFF
	v_cndmask_b32_e64 v46, v46, v127, s[60:61]                 // 000000006778: D100002E 00F2FF2E
	s_lshl_b32 s60, s60, 1                                     // 000000006780: 8E3C813C
	s_lshl_b32 s61, s61, 1                                     // 000000006784: 8E3D813D
	s_and_b32 s60, 0xfffeffff, s60                             // 000000006788: 863C3CFF FFFEFFFF
	s_and_b32 s61, 0xfffeffff, s61                             // 000000006790: 863D3DFF FFFEFFFF
	v_cndmask_b32_e64 v47, v47, v127, s[60:61]                 // 000000006798: D100002F 00F2FF2F
	s_branch label_09F3                                        // 0000000067A0: BF820005

00000000000067a4 <label_09EE>:
	v_mov_b32_e32 v44, v127                                    // 0000000067A4: 7E58037F
	v_mov_b32_e32 v45, v127                                    // 0000000067A8: 7E5A037F
	v_mov_b32_e32 v46, v127                                    // 0000000067AC: 7E5C037F
	v_mov_b32_e32 v47, v127                                    // 0000000067B0: 7E5E037F
	s_branch label_09F3                                        // 0000000067B4: BF820000

00000000000067b8 <label_09F3>:
	s_cmp_lt_i32 s64, 0xc0                                     // 0000000067B8: BF04FF40 000000C0
	s_cbranch_scc0 label_0A48                                  // 0000000067C0: BF84004D
	s_cmp_le_i32 s64, 64                                       // 0000000067C4: BF05C040
	s_cbranch_scc1 label_09FF                                  // 0000000067C8: BF850007
	s_cmp_le_i32 s64, 0x80                                     // 0000000067CC: BF05FF40 00000080
	s_cbranch_scc1 label_0A17                                  // 0000000067D4: BF850017
	s_cmp_lt_i32 s64, 0xc0                                     // 0000000067D8: BF04FF40 000000C0
	s_cbranch_scc1 label_0A2F                                  // 0000000067E0: BF85002C
	s_branch label_0A48                                        // 0000000067E4: BF820044

00000000000067e8 <label_09FF>:
	s_mov_b32 s60, 0                                           // 0000000067E8: BEBC0080
	v_and_b32_e32 v32, 15, v0                                  // 0000000067EC: 2640008F
	v_add_u32_e64 v32, v32, s60                                // 0000000067F0: D1340020 00007920
	v_mul_i32_i24_e64 v33, s46, 16                             // 0000000067F8: D1060021 0001202E
	v_add_u32_e32 v32, v32, v33                                // 000000006800: 68404320
	v_cmp_lt_u32_e64 s[60:61], v32, s64                        // 000000006804: D0C9003C 00008120
	s_nop 1                                                    // 00000000680C: BF800001
	v_cndmask_b32_e64 v36, v127, v36, s[60:61]                 // 000000006810: D1000024 00F2497F
	v_cndmask_b32_e64 v37, v127, v37, s[60:61]                 // 000000006818: D1000025 00F24B7F
	v_cndmask_b32_e64 v38, v127, v38, s[60:61]                 // 000000006820: D1000026 00F24D7F
	v_cndmask_b32_e64 v39, v127, v39, s[60:61]                 // 000000006828: D1000027 00F24F7F
	s_branch label_0A2A                                        // 000000006830: BF820013

0000000000006834 <label_0A17>:
	s_mov_b32 s60, 64                                          // 000000006834: BEBC00C0
	v_and_b32_e32 v32, 15, v0                                  // 000000006838: 2640008F
	v_add_u32_e64 v32, v32, s60                                // 00000000683C: D1340020 00007920
	v_mul_i32_i24_e64 v33, s46, 16                             // 000000006844: D1060021 0001202E
	v_add_u32_e32 v32, v32, v33                                // 00000000684C: 68404320
	v_cmp_lt_u32_e64 s[60:61], v32, s64                        // 000000006850: D0C9003C 00008120
	s_nop 1                                                    // 000000006858: BF800001
	v_cndmask_b32_e64 v40, v127, v40, s[60:61]                 // 00000000685C: D1000028 00F2517F
	v_cndmask_b32_e64 v41, v127, v41, s[60:61]                 // 000000006864: D1000029 00F2537F
	v_cndmask_b32_e64 v42, v127, v42, s[60:61]                 // 00000000686C: D100002A 00F2557F
	v_cndmask_b32_e64 v43, v127, v43, s[60:61]                 // 000000006874: D100002B 00F2577F
	s_branch label_0A43                                        // 00000000687C: BF820019

0000000000006880 <label_0A2A>:
	v_mov_b32_e32 v40, v127                                    // 000000006880: 7E50037F
	v_mov_b32_e32 v41, v127                                    // 000000006884: 7E52037F
	v_mov_b32_e32 v42, v127                                    // 000000006888: 7E54037F
	v_mov_b32_e32 v43, v127                                    // 00000000688C: 7E56037F
	s_branch label_0A43                                        // 000000006890: BF820014

0000000000006894 <label_0A2F>:
	s_mov_b32 s60, 0x80                                        // 000000006894: BEBC00FF 00000080
	v_and_b32_e32 v32, 15, v0                                  // 00000000689C: 2640008F
	v_add_u32_e64 v32, v32, s60                                // 0000000068A0: D1340020 00007920
	v_mul_i32_i24_e64 v33, s46, 16                             // 0000000068A8: D1060021 0001202E
	v_add_u32_e32 v32, v32, v33                                // 0000000068B0: 68404320
	v_cmp_lt_u32_e64 s[60:61], v32, s64                        // 0000000068B4: D0C9003C 00008120
	s_nop 1                                                    // 0000000068BC: BF800001
	v_cndmask_b32_e64 v44, v127, v44, s[60:61]                 // 0000000068C0: D100002C 00F2597F
	v_cndmask_b32_e64 v45, v127, v45, s[60:61]                 // 0000000068C8: D100002D 00F25B7F
	v_cndmask_b32_e64 v46, v127, v46, s[60:61]                 // 0000000068D0: D100002E 00F25D7F
	v_cndmask_b32_e64 v47, v127, v47, s[60:61]                 // 0000000068D8: D100002F 00F25F7F
	s_branch label_0A48                                        // 0000000068E0: BF820005

00000000000068e4 <label_0A43>:
	v_mov_b32_e32 v44, v127                                    // 0000000068E4: 7E58037F
	v_mov_b32_e32 v45, v127                                    // 0000000068E8: 7E5A037F
	v_mov_b32_e32 v46, v127                                    // 0000000068EC: 7E5C037F
	v_mov_b32_e32 v47, v127                                    // 0000000068F0: 7E5E037F
	s_branch label_0A48                                        // 0000000068F4: BF820000

00000000000068f8 <label_0A48>:
	s_addk_i32 s74, 0x1                                        // 0000000068F8: B74A0001
	s_waitcnt lgkmcnt(8)                                       // 0000000068FC: BF8CC87F
	v_mfma_f32_16x16x32_bf16 v[60:63], v[72:75], a[64:67], 0   // 000000006900: D3B5003C 12028148
	v_exp_f32_e32 v36, v36                                     // 000000006908: 7E484124
	v_exp_f32_e32 v37, v37                                     // 00000000690C: 7E4A4125
	v_mfma_f32_16x16x32_bf16 v[60:63], v[76:79], a[68:71], v[60:63]// 000000006910: D3B5003C 14F2894C
	v_exp_f32_e32 v38, v38                                     // 000000006918: 7E4C4126
	v_exp_f32_e32 v39, v39                                     // 00000000691C: 7E4E4127
	v_mfma_f32_16x16x32_bf16 v[60:63], v[80:83], a[72:75], v[60:63]// 000000006920: D3B5003C 14F29150
	ds_read_b64_tr_b16 v[224:225], v13 offset:6144             // 000000006928: D9C61800 E000000D
	ds_read_b64_tr_b16 v[226:227], v13 offset:6400             // 000000006930: D9C61900 E200000D
	ds_read_b64_tr_b16 v[228:229], v13 offset:7168             // 000000006938: D9C61C00 E400000D
	ds_read_b64_tr_b16 v[230:231], v13 offset:7424             // 000000006940: D9C61D00 E600000D
	v_mfma_f32_16x16x32_bf16 v[60:63], v[84:87], a[76:79], v[60:63]// 000000006948: D3B5003C 14F29954
	v_fma_f32 v44, v44, s57, -v104                             // 000000006950: D1CB002C 85A0732C
	v_fma_f32 v45, v45, s57, -v105                             // 000000006958: D1CB002D 85A4732D
	v_exp_f32_e32 v40, v40                                     // 000000006960: 7E504128
	v_exp_f32_e32 v41, v41                                     // 000000006964: 7E524129
	buffer_atomic_add_f32 v110, v9, s[32:35], 0 offen          // 000000006968: E1341000 80086E09
	v_mfma_f32_16x16x32_bf16 v[64:67], v[72:75], a[80:83], 0   // 000000006970: D3B50040 1202A148
	ds_read_b64_tr_b16 v[232:233], v13 offset:8192             // 000000006978: D9C62000 E800000D
	ds_read_b64_tr_b16 v[234:235], v13 offset:8448             // 000000006980: D9C62100 EA00000D
	ds_read_b64_tr_b16 v[236:237], v13 offset:9216             // 000000006988: D9C62400 EC00000D
	ds_read_b64_tr_b16 v[238:239], v13 offset:9472             // 000000006990: D9C62500 EE00000D
	v_mfma_f32_16x16x32_bf16 v[64:67], v[76:79], a[84:87], v[64:67]// 000000006998: D3B50040 1502A94C
	v_fma_f32 v46, v46, s57, -v106                             // 0000000069A0: D1CB002E 85A8732E
	v_fma_f32 v47, v47, s57, -v107                             // 0000000069A8: D1CB002F 85AC732F
	v_exp_f32_e32 v42, v42                                     // 0000000069B0: 7E54412A
	v_exp_f32_e32 v43, v43                                     // 0000000069B4: 7E56412B
	v_mfma_f32_16x16x32_bf16 v[64:67], v[80:83], a[88:91], v[64:67]// 0000000069B8: D3B50040 1502B150
	v_exp_f32_e32 v44, v44                                     // 0000000069C0: 7E58412C
	v_exp_f32_e32 v45, v45                                     // 0000000069C4: 7E5A412D
	v_mfma_f32_16x16x32_bf16 v[64:67], v[84:87], a[92:95], v[64:67]// 0000000069C8: D3B50040 1502B954
	v_cvt_pk_bf16_f32 v120, v36, v37                           // 0000000069D0: D2680078 00024B24
	v_cvt_pk_bf16_f32 v121, v38, v39                           // 0000000069D8: D2680079 00024F26
	v_cvt_pk_bf16_f32 v122, v40, v41                           // 0000000069E0: D268007A 00025328
	v_cvt_pk_bf16_f32 v123, v42, v43                           // 0000000069E8: D268007B 0002572A
	v_mfma_f32_16x16x32_bf16 v[68:71], v[72:75], a[96:99], 0   // 0000000069F0: D3B50044 1202C148
	v_exp_f32_e32 v46, v46                                     // 0000000069F8: 7E5C412E
	v_exp_f32_e32 v47, v47                                     // 0000000069FC: 7E5E412F
	v_mfma_f32_16x16x32_bf16 v[68:71], v[76:79], a[100:103], v[68:71]// 000000006A00: D3B50044 1512C94C
	v_permlane16_swap_b32_e32 v120, v122                       // 000000006A08: 7EF0B37A
	v_permlane16_swap_b32_e32 v121, v123                       // 000000006A0C: 7EF2B37B
	v_mfma_f32_16x16x32_bf16 v[68:71], v[80:83], a[104:107], v[68:71]// 000000006A10: D3B50044 1512D150
	ds_read_b64_tr_b16 v[240:241], v13 offset:10240            // 000000006A18: D9C62800 F000000D
	ds_read_b64_tr_b16 v[242:243], v13 offset:10496            // 000000006A20: D9C62900 F200000D
	ds_read_b64_tr_b16 v[244:245], v13 offset:11264            // 000000006A28: D9C62C00 F400000D
	ds_read_b64_tr_b16 v[246:247], v13 offset:11520            // 000000006A30: D9C62D00 F600000D
	v_mfma_f32_16x16x32_bf16 v[68:71], v[84:87], a[108:111], v[68:71]// 000000006A38: D3B50044 1512D954
	v_cvt_pk_bf16_f32 v124, v44, v45                           // 000000006A40: D268007C 00025B2C
	v_cvt_pk_bf16_f32 v125, v46, v47                           // 000000006A48: D268007D 00025F2E
	buffer_atomic_add_f32 v111, v10, s[32:35], 0 offen         // 000000006A50: E1341000 80086F0A
	s_waitcnt lgkmcnt(12)                                      // 000000006A58: BF8CCC7F
	v_mfma_f32_32x32x16_bf16 v[128:143], v[88:91], v[120:123], v[128:143]// 000000006A5C: D3B70080 0602F158
	ds_read_b64_tr_b16 a[0:1], v19                             // 000000006A64: DBC60000 00000013
	ds_read_b64_tr_b16 a[2:3], v19 offset:256                  // 000000006A6C: DBC60100 02000013
	ds_read_b64_tr_b16 a[4:5], v19 offset:12288                // 000000006A74: DBC63000 04000013
	ds_read_b64_tr_b16 a[6:7], v19 offset:12544                // 000000006A7C: DBC63100 06000013
	ds_read_b64_tr_b16 a[8:9], v19 offset:24576                // 000000006A84: DBC66000 08000013
	buffer_atomic_add_f32 v112, v7, s[32:35], 0 offen offset:64// 000000006A8C: E1341040 80087007
	v_mfma_f32_32x32x16_bf16 v[144:159], v[92:95], v[120:123], v[144:159]// 000000006A94: D3B70090 0642F15C
	v_subrev_f32_dpp v60, v126, v60 quad_perm:[0,0,0,0] row_mask:0xf bank_mask:0xf// 000000006A9C: 067878FA FF00007E
	v_subrev_f32_dpp v61, v126, v61 quad_perm:[1,1,1,1] row_mask:0xf bank_mask:0xf// 000000006AA4: 067A7AFA FF00557E
	v_subrev_f32_dpp v62, v126, v62 quad_perm:[2,2,2,2] row_mask:0xf bank_mask:0xf// 000000006AAC: 067C7CFA FF00AA7E
	v_subrev_f32_dpp v63, v126, v63 quad_perm:[3,3,3,3] row_mask:0xf bank_mask:0xf// 000000006AB4: 067E7EFA FF00FF7E
	v_subrev_f32_dpp v64, v126, v64 quad_perm:[0,0,0,0] row_mask:0xf bank_mask:0xf// 000000006ABC: 068080FA FF00007E
	v_subrev_f32_dpp v65, v126, v65 quad_perm:[1,1,1,1] row_mask:0xf bank_mask:0xf// 000000006AC4: 068282FA FF00557E
	v_subrev_f32_dpp v66, v126, v66 quad_perm:[2,2,2,2] row_mask:0xf bank_mask:0xf// 000000006ACC: 068484FA FF00AA7E
	v_subrev_f32_dpp v67, v126, v67 quad_perm:[3,3,3,3] row_mask:0xf bank_mask:0xf// 000000006AD4: 068686FA FF00FF7E
	v_mul_f32_e32 v60, v36, v60                                // 000000006ADC: 0A787924
	v_mul_f32_e32 v61, v37, v61                                // 000000006AE0: 0A7A7B25
	v_mul_f32_e32 v62, v38, v62                                // 000000006AE4: 0A7C7D26
	v_mul_f32_e32 v63, v39, v63                                // 000000006AE8: 0A7E7F27
	v_mfma_f32_32x32x16_bf16 v[160:175], v[96:99], v[120:123], v[160:175]// 000000006AEC: D3B700A0 0682F160
	ds_read_b64_tr_b16 a[10:11], v19 offset:24832              // 000000006AF4: DBC66100 0A000013
	ds_read_b64_tr_b16 a[12:13], v19 offset:36864              // 000000006AFC: DBC69000 0C000013
	ds_read_b64_tr_b16 a[14:15], v19 offset:37120              // 000000006B04: DBC69100 0E000013
	ds_read_b64_tr_b16 a[16:17], v19 offset:49152              // 000000006B0C: DBC6C000 10000013
	ds_read_b64_tr_b16 a[18:19], v19 offset:49408              // 000000006B14: DBC6C100 12000013
	ds_read_b32 v104, v16 offset:38656                         // 000000006B1C: D86C9700 68000010
	v_mfma_f32_32x32x16_bf16 v[176:191], v[100:103], v[120:123], v[176:191]// 000000006B24: D3B700B0 06C2F164
	v_mul_f32_e32 v64, v40, v64                                // 000000006B2C: 0A808128
	v_mul_f32_e32 v65, v41, v65                                // 000000006B30: 0A828329
	v_mul_f32_e32 v66, v42, v66                                // 000000006B34: 0A84852A
	v_mul_f32_e32 v67, v43, v67                                // 000000006B38: 0A86872B
	v_permlane16_swap_b32_e32 v88, v90                         // 000000006B3C: 7EB0B35A
	v_permlane16_swap_b32_e32 v89, v91                         // 000000006B40: 7EB2B35B
	v_cvt_pk_bf16_f32 v60, v60, v61                            // 000000006B44: D268003C 00027B3C
	v_cvt_pk_bf16_f32 v61, v62, v63                            // 000000006B4C: D268003D 00027F3E
	v_cvt_pk_bf16_f32 v62, v64, v65                            // 000000006B54: D268003E 00028340
	v_cvt_pk_bf16_f32 v63, v66, v67                            // 000000006B5C: D268003F 00028742
	v_permlane16_swap_b32_e32 v92, v94                         // 000000006B64: 7EB8B35E
	v_permlane16_swap_b32_e32 v93, v95                         // 000000006B68: 7EBAB35F
	v_mfma_f32_16x16x16_bf16 v[192:195], v[88:89], v[124:125], v[192:195]// 000000006B6C: D3E100C0 0702F958
	buffer_atomic_add_f32 v113, v8, s[32:35], 0 offen offset:64// 000000006B74: E1341040 80087108
	ds_write_b64 v15, v[60:61] offset:30720                    // 000000006B7C: D89A7800 00003C0F
	ds_write_b64 v15, v[62:63] offset:33024                    // 000000006B84: D89A8100 00003E0F
	v_mfma_f32_16x16x16_bf16 v[196:199], v[90:91], v[124:125], v[196:199]// 000000006B8C: D3E100C4 0712F95A
	v_permlane16_swap_b32_e32 v96, v98                         // 000000006B94: 7EC0B362
	v_permlane16_swap_b32_e32 v97, v99                         // 000000006B98: 7EC2B363
	v_subrev_f32_dpp v68, v126, v68 quad_perm:[0,0,0,0] row_mask:0xf bank_mask:0xf// 000000006B9C: 068888FA FF00007E
	v_subrev_f32_dpp v69, v126, v69 quad_perm:[1,1,1,1] row_mask:0xf bank_mask:0xf// 000000006BA4: 068A8AFA FF00557E
	v_mfma_f32_16x16x16_bf16 v[200:203], v[92:93], v[124:125], v[200:203]// 000000006BAC: D3E100C8 0722F95C
	v_permlane16_swap_b32_e32 v100, v102                       // 000000006BB4: 7EC8B366
	v_permlane16_swap_b32_e32 v101, v103                       // 000000006BB8: 7ECAB367
	v_subrev_f32_dpp v70, v126, v70 quad_perm:[2,2,2,2] row_mask:0xf bank_mask:0xf// 000000006BBC: 068C8CFA FF00AA7E
	v_subrev_f32_dpp v71, v126, v71 quad_perm:[3,3,3,3] row_mask:0xf bank_mask:0xf// 000000006BC4: 068E8EFA FF00FF7E
	v_mfma_f32_16x16x16_bf16 v[204:207], v[94:95], v[124:125], v[204:207]// 000000006BCC: D3E100CC 0732F95E
	v_permlane16_swap_b32_e32 v60, v62                         // 000000006BD4: 7E78B33E
	v_permlane16_swap_b32_e32 v61, v63                         // 000000006BD8: 7E7AB33F
	v_mfma_f32_16x16x16_bf16 v[208:211], v[96:97], v[124:125], v[208:211]// 000000006BDC: D3E100D0 0742F960
	ds_read_b64_tr_b16 a[20:21], v19 offset:61440              // 000000006BE4: DBC6F000 14000013
	ds_read_b64_tr_b16 a[22:23], v19 offset:61696              // 000000006BEC: DBC6F100 16000013
	ds_read_b64_tr_b16 a[24:25], v20                           // 000000006BF4: DBC60000 18000014
	v_mfma_f32_16x16x16_bf16 v[212:215], v[98:99], v[124:125], v[212:215]// 000000006BFC: D3E100D4 0752F962
	v_mul_f32_e32 v68, v44, v68                                // 000000006C04: 0A88892C
	v_mul_f32_e32 v69, v45, v69                                // 000000006C08: 0A8A8B2D
	v_mul_f32_e32 v70, v46, v70                                // 000000006C0C: 0A8C8D2E
	v_mfma_f32_16x16x16_bf16 v[216:219], v[100:101], v[124:125], v[216:219]// 000000006C10: D3E100D8 0762F964
	ds_read_b32 v126, v16 offset:38912                         // 000000006C18: D86C9800 7E000010
	ds_read_b64_tr_b16 a[26:27], v20 offset:256                // 000000006C20: DBC60100 1A000014
	ds_read_b64_tr_b16 a[28:29], v20 offset:12288              // 000000006C28: DBC63000 1C000014
	v_mfma_f32_16x16x16_bf16 v[220:223], v[102:103], v[124:125], v[220:223]// 000000006C30: D3E100DC 0772F966
	v_mul_f32_e32 v71, v47, v71                                // 000000006C38: 0A8E8F2F
	v_cvt_pk_bf16_f32 v64, v68, v69                            // 000000006C3C: D2680040 00028B44
	v_cvt_pk_bf16_f32 v65, v70, v71                            // 000000006C44: D2680041 00028F46
	s_waitcnt lgkmcnt(8)                                       // 000000006C4C: BF8CC87F
	v_mfma_f32_32x32x16_bf16 a[112:127], v[224:227], v[60:63], a[112:127]// 000000006C50: D3B78070 05C279E0
	ds_read_b64_tr_b16 a[30:31], v20 offset:12544              // 000000006C58: DBC63100 1E000014
	ds_write_b64 v15, v[64:65] offset:35328                    // 000000006C60: D89A8A00 0000400F
	ds_read_b64_tr_b16 a[32:33], v20 offset:24576              // 000000006C68: DBC66000 20000014
	ds_read_b64_tr_b16 a[34:35], v20 offset:24832              // 000000006C70: DBC66100 22000014
	v_mfma_f32_32x32x16_bf16 a[128:143], v[228:231], v[60:63], a[128:143]// 000000006C78: D3B78080 060279E4
	v_mul_f32_e32 v104, s48, v104                              // 000000006C80: 0AD0D030
	buffer_atomic_add_f32 v114, v9, s[32:35], 0 offen offset:64// 000000006C84: E1341040 80087209
	v_mfma_f32_32x32x16_bf16 a[144:159], v[232:235], v[60:63], a[144:159]// 000000006C8C: D3B78090 064279E8
	ds_read_b64_tr_b16 a[36:37], v20 offset:36864              // 000000006C94: DBC69000 24000014
	ds_read_b64_tr_b16 a[38:39], v20 offset:37120              // 000000006C9C: DBC69100 26000014
	ds_read_b64_tr_b16 a[40:41], v20 offset:49152              // 000000006CA4: DBC6C000 28000014
	ds_read_b64_tr_b16 a[42:43], v20 offset:49408              // 000000006CAC: DBC6C100 2A000014
	ds_read_b64_tr_b16 a[44:45], v20 offset:61440              // 000000006CB4: DBC6F000 2C000014
	ds_read_b64_tr_b16 a[46:47], v20 offset:61696              // 000000006CBC: DBC6F100 2E000014
	v_mfma_f32_32x32x16_bf16 a[160:175], v[236:239], v[60:63], a[160:175]// 000000006CC4: D3B780A0 068279EC
	.long 0x7fc0b3e2                                           // 000000006CCC: 7FC0B3E2
	.long 0x7fc2b3e3                                           // 000000006CD0: 7FC2B3E3
	buffer_atomic_add_f32 v115, v10, s[32:35], 0 offen offset:64// 000000006CD4: E1341040 8008730A
	s_waitcnt lgkmcnt(8)                                       // 000000006CDC: BF8CC87F
	s_barrier                                                  // 000000006CE0: BF8A0000
	v_mfma_f32_32x32x16_bf16 a[176:191], v[240:243], v[60:63], a[176:191]// 000000006CE4: D3B780B0 06C279F0
	ds_read_b64_tr_b16 v[36:37], v14 offset:30720              // 000000006CEC: D9C67800 2400000E
	ds_read_b64_tr_b16 v[38:39], v14 offset:30752              // 000000006CF4: D9C67820 2600000E
	ds_read_b64_tr_b16 v[40:41], v14 offset:31872              // 000000006CFC: D9C67C80 2800000E
	ds_read_b64_tr_b16 v[42:43], v14 offset:31904              // 000000006D04: D9C67CA0 2A00000E
	ds_read_b64_tr_b16 v[44:45], v14 offset:33024              // 000000006D0C: D9C68100 2C00000E
	ds_read_b64_tr_b16 v[46:47], v14 offset:33056              // 000000006D14: D9C68120 2E00000E
	v_mfma_f32_32x32x16_bf16 a[192:207], v[244:247], v[60:63], a[192:207]// 000000006D1C: D3B780C0 070279F4
	.long 0x7fc8b3e6                                           // 000000006D24: 7FC8B3E6
	.long 0x7fcab3e7                                           // 000000006D28: 7FCAB3E7
	v_mov_b32_dpp v107, v104 quad_perm:[3,3,3,3] row_mask:0xf bank_mask:0xf// 000000006D2C: 7ED602FA FF00FF68
	v_mov_b32_dpp v106, v104 quad_perm:[2,2,2,2] row_mask:0xf bank_mask:0xf// 000000006D34: 7ED402FA FF00AA68
	buffer_atomic_add_f32 v116, v7, s[32:35], 0 offen offset:128// 000000006D3C: E1341080 80087407
	v_mfma_f32_16x16x16_bf16 a[208:211], v[224:225], v[64:65], a[208:211]// 000000006D44: D3E180D0 074281E0
	ds_read_b64_tr_b16 v[48:49], v14 offset:34176              // 000000006D4C: D9C68580 3000000E
	ds_read_b64_tr_b16 v[50:51], v14 offset:34208              // 000000006D54: D9C685A0 3200000E
	ds_read_b64_tr_b16 v[52:53], v14 offset:35328              // 000000006D5C: D9C68A00 3400000E
	v_mfma_f32_16x16x16_bf16 a[212:215], v[226:227], v[64:65], a[212:215]// 000000006D64: D3E180D4 075281E2
	.long 0x7fd0b3ea                                           // 000000006D6C: 7FD0B3EA
	.long 0x7fd2b3eb                                           // 000000006D70: 7FD2B3EB
	v_mfma_f32_16x16x16_bf16 a[216:219], v[228:229], v[64:65], a[216:219]// 000000006D74: D3E180D8 076281E4
	ds_read_b64_tr_b16 v[54:55], v14 offset:35360              // 000000006D7C: D9C68A20 3600000E
	ds_read_b64_tr_b16 v[56:57], v14 offset:36480              // 000000006D84: D9C68E80 3800000E
	ds_read_b64_tr_b16 v[58:59], v14 offset:36512              // 000000006D8C: D9C68EA0 3A00000E
	v_mfma_f32_16x16x16_bf16 a[220:223], v[230:231], v[64:65], a[220:223]// 000000006D94: D3E180DC 077281E6
	v_permlane16_swap_b32_e32 v236, v238                       // 000000006D9C: 7FD8B3EE
	v_permlane16_swap_b32_e32 v237, v239                       // 000000006DA0: 7FDAB3EF
	buffer_atomic_add_f32 v117, v8, s[32:35], 0 offen offset:128// 000000006DA4: E1341080 80087508
	v_mfma_f32_16x16x16_bf16 a[224:227], v[232:233], v[64:65], a[224:227]// 000000006DAC: D3E180E0 078281E8
	ds_read_b64_tr_b16 a[48:49], v21                           // 000000006DB4: DBC60000 30000015
	ds_read_b64_tr_b16 a[50:51], v21 offset:256                // 000000006DBC: DBC60100 32000015
	ds_read_b64_tr_b16 a[52:53], v21 offset:12288              // 000000006DC4: DBC63000 34000015
	v_mfma_f32_16x16x16_bf16 a[228:231], v[234:235], v[64:65], a[228:231]// 000000006DCC: D3E180E4 079281EA
	v_permlane16_swap_b32_e32 v240, v242                       // 000000006DD4: 7FE0B3F2
	v_permlane16_swap_b32_e32 v241, v243                       // 000000006DD8: 7FE2B3F3
	v_mfma_f32_16x16x16_bf16 a[232:235], v[236:237], v[64:65], a[232:235]// 000000006DDC: D3E180E8 07A281EC
	ds_read_b64_tr_b16 a[54:55], v21 offset:12544              // 000000006DE4: DBC63100 36000015
	ds_read_b64_tr_b16 a[56:57], v21 offset:24576              // 000000006DEC: DBC66000 38000015
	ds_read_b64_tr_b16 a[58:59], v21 offset:24832              // 000000006DF4: DBC66100 3A000015
	v_mfma_f32_16x16x16_bf16 a[236:239], v[238:239], v[64:65], a[236:239]// 000000006DFC: D3E180EC 07B281EE
	v_permlane16_swap_b32_e32 v244, v246                       // 000000006E04: 7FE8B3F6
	v_permlane16_swap_b32_e32 v245, v247                       // 000000006E08: 7FEAB3F7
	v_mfma_f32_16x16x16_bf16 a[240:243], v[240:241], v[64:65], a[240:243]// 000000006E0C: D3E180F0 07C281F0
	ds_read_b64_tr_b16 a[60:61], v21 offset:36864              // 000000006E14: DBC69000 3C000015
	ds_read_b64_tr_b16 a[62:63], v21 offset:37120              // 000000006E1C: DBC69100 3E000015
	ds_read_b64_tr_b16 v[248:249], v21 offset:49152            // 000000006E24: D9C6C000 F8000015
	v_mfma_f32_16x16x16_bf16 a[244:247], v[242:243], v[64:65], a[244:247]// 000000006E2C: D3E180F4 07D281F2
	v_mov_b32_dpp v105, v104 quad_perm:[1,1,1,1] row_mask:0xf bank_mask:0xf// 000000006E34: 7ED202FA FF005568
	buffer_atomic_add_f32 v118, v9, s[32:35], 0 offen offset:128// 000000006E3C: E1341080 80087609
	v_mfma_f32_16x16x16_bf16 a[248:251], v[244:245], v[64:65], a[248:251]// 000000006E44: D3E180F8 07E281F4
	ds_read_b64_tr_b16 v[250:251], v21 offset:49408            // 000000006E4C: D9C6C100 FA000015
	ds_read_b64_tr_b16 v[252:253], v21 offset:61440            // 000000006E54: D9C6F000 FC000015
	ds_read_b64_tr_b16 v[254:255], v21 offset:61696            // 000000006E5C: D9C6F100 FE000015
	v_mfma_f32_16x16x16_bf16 a[252:255], v[246:247], v[64:65], a[252:255]// 000000006E64: D3E180FC 07F281F6
	v_mov_b32_dpp v104, v104 quad_perm:[0,0,0,0] row_mask:0xf bank_mask:0xf// 000000006E6C: 7ED002FA FF000068
	buffer_atomic_add_f32 v119, v10, s[32:35], 0 offen offset:128// 000000006E74: E1341080 8008770A
	s_waitcnt vmcnt(12) lgkmcnt(6)                             // 000000006E7C: BF8C067C
	s_barrier                                                  // 000000006E80: BF8A0000
	v_mfma_f32_16x16x32_bf16 v[108:111], v[36:39], a[0:3], 0   // 000000006E84: D3B5006C 12020124
	ds_read_b128 v[224:227], v12 offset:12288                  // 000000006E8C: D9FE3000 E000000C
	ds_read_b128 v[228:231], v12 offset:13312                  // 000000006E94: D9FE3400 E400000C
	v_mfma_f32_16x16x32_bf16 v[108:111], v[40:43], a[4:7], v[108:111]// 000000006E9C: D3B5006C 15B20928
	s_mov_b32 m0, s84                                          // 000000006EA4: BEFC0054
	buffer_load_dwordx4 v1, s[8:11], 0 idxen lds               // 000000006EA8: E05D2000 80020001
	v_mfma_f32_16x16x32_bf16 v[108:111], v[44:47], a[8:11], v[108:111]// 000000006EB0: D3B5006C 15B2112C
	ds_read_b128 v[232:235], v12 offset:14336                  // 000000006EB8: D9FE3800 E800000C
	ds_read_b128 v[236:239], v12 offset:15360                  // 000000006EC0: D9FE3C00 EC00000C
	v_mfma_f32_16x16x32_bf16 v[108:111], v[48:51], a[12:15], v[108:111]// 000000006EC8: D3B5006C 15B21930
	s_mov_b32 m0, s85                                          // 000000006ED0: BEFC0055
	buffer_load_dword v2, s[8:11], 0 idxen lds                 // 000000006ED4: E0512000 80020002
	v_mfma_f32_16x16x32_bf16 v[108:111], v[52:55], a[16:19], v[108:111]// 000000006EDC: D3B5006C 15B22134
	ds_read_b128 v[240:243], v12 offset:16384                  // 000000006EE4: D9FE4000 F000000C
	ds_read_b128 v[244:247], v12 offset:17408                  // 000000006EEC: D9FE4400 F400000C
	v_mfma_f32_16x16x32_bf16 v[108:111], v[56:59], a[20:23], v[108:111]// 000000006EF4: D3B5006C 15B22938
	s_mov_b32 m0, s86                                          // 000000006EFC: BEFC0056
	buffer_load_dword v3, s[8:11], 0 idxen lds                 // 000000006F00: E0512000 80020003
	v_mfma_f32_16x16x32_bf16 v[112:115], v[36:39], a[24:27], 0 // 000000006F08: D3B50070 12023124
	ds_read_b128 a[0:3], v17                                   // 000000006F10: DBFE0000 00000011
	ds_read_b128 a[4:7], v17 offset:1024                       // 000000006F18: DBFE0400 04000011
	v_mfma_f32_16x16x32_bf16 v[112:115], v[40:43], a[28:31], v[112:115]// 000000006F20: D3B50070 15C23928
	s_mov_b32 m0, s91                                          // 000000006F28: BEFC005B
	buffer_load_dwordx4 v4, s[20:23], 0 idxen lds              // 000000006F2C: E05D2000 80050004
	v_mfma_f32_16x16x32_bf16 v[112:115], v[44:47], a[32:35], v[112:115]// 000000006F34: D3B50070 15C2412C
	ds_read_b128 a[8:11], v17 offset:2048                      // 000000006F3C: DBFE0800 08000011
	ds_read_b128 a[12:15], v17 offset:3072                     // 000000006F44: DBFE0C00 0C000011
	v_mfma_f32_16x16x32_bf16 v[112:115], v[48:51], a[36:39], v[112:115]// 000000006F4C: D3B50070 15C24930
	v_mul_f32_e32 v108, s47, v108                              // 000000006F54: 0AD8D82F
	v_mul_f32_e32 v109, s47, v109                              // 000000006F58: 0ADADA2F
	s_mov_b32 m0, s79                                          // 000000006F5C: BEFC004F
	buffer_load_dword v11, s[24:27], 0 idxen lds               // 000000006F60: E0512000 8006000B
	v_mfma_f32_16x16x32_bf16 v[112:115], v[52:55], a[40:43], v[112:115]// 000000006F68: D3B50070 15C25134
	ds_read_b128 a[16:19], v17 offset:4096                     // 000000006F70: DBFE1000 10000011
	ds_read_b128 a[20:23], v17 offset:5120                     // 000000006F78: DBFE1400 14000011
	v_mfma_f32_16x16x32_bf16 v[112:115], v[56:59], a[44:47], v[112:115]// 000000006F80: D3B50070 15C25938
	s_add_u32 s60, 64, s59                                     // 000000006F88: 803C3BC0
	s_cmp_lt_u32 s60, s58                                      // 000000006F8C: BF0A3A3C
	s_cselect_b32 s68, s68, 0                                  // 000000006F90: 85448044
	s_cselect_b32 s101, s101, 0                                // 000000006F94: 85658065
	s_cselect_b32 s69, s69, 0                                  // 000000006F98: 85458045
	v_mfma_f32_16x16x32_bf16 v[116:119], v[36:39], a[48:51], 0 // 000000006F9C: D3B50074 12026124
	ds_read_b128 a[24:27], v17 offset:24576                    // 000000006FA4: DBFE6000 18000011
	ds_read_b128 a[28:31], v17 offset:25600                    // 000000006FAC: DBFE6400 1C000011
	v_mfma_f32_16x16x32_bf16 v[116:119], v[40:43], a[52:55], v[116:119]// 000000006FB4: D3B50074 15D26928
	v_add_u32_e32 v1, s68, v1                                  // 000000006FBC: 68020244
	v_add_u32_e32 v2, s68, v2                                  // 000000006FC0: 68040444
	v_add_u32_e32 v3, s68, v3                                  // 000000006FC4: 68060644
	v_add_u32_e32 v4, s101, v4                                 // 000000006FC8: 68080865
	v_add_u32_e32 v11, s69, v11                                // 000000006FCC: 68161645
	s_waitcnt lgkmcnt(14)                                      // 000000006FD0: BF8CCE7F
	v_mfma_f32_16x16x32_bf16 v[116:119], v[44:47], a[56:59], v[116:119]// 000000006FD4: D3B50074 15D2712C
	ds_read_b128 a[32:35], v17 offset:26624                    // 000000006FDC: DBFE6800 20000011
	ds_read_b128 a[36:39], v17 offset:27648                    // 000000006FE4: DBFE6C00 24000011
	v_mfma_f32_16x16x32_bf16 v[116:119], v[48:51], a[60:63], v[116:119]// 000000006FEC: D3B50074 15D27930
	v_mul_f32_e32 v110, s47, v110                              // 000000006FF4: 0ADCDC2F
	v_mul_f32_e32 v111, s47, v111                              // 000000006FF8: 0ADEDE2F
	s_cmp_ge_u32 s59, s73                                      // 000000006FFC: BF09493B
	s_cselect_b32 s66, s67, s66                                // 000000007000: 85424243
	v_mfma_f32_16x16x32_bf16 v[116:119], v[52:55], v[248:251], v[116:119]// 000000007004: D3B50074 05D3F134
	ds_read_b128 a[40:43], v17 offset:28672                    // 00000000700C: DBFE7000 28000011
	ds_read_b128 a[44:47], v17 offset:29696                    // 000000007014: DBFE7400 2C000011
	v_mfma_f32_16x16x32_bf16 v[116:119], v[56:59], v[252:255], v[116:119]// 00000000701C: D3B50074 05D3F938
	s_addk_i32 s59, 0x10                                       // 000000007024: B73B0010
	v_mul_f32_e32 v112, s47, v112                              // 000000007028: 0AE0E02F
	v_mul_f32_e32 v113, s47, v113                              // 00000000702C: 0AE2E22F
	s_cmp_lt_i32 s59, s58                                      // 000000007030: BF043A3B
	s_cbranch_scc0 label_0F20                                  // 000000007034: BF840303
	s_waitcnt lgkmcnt(2)                                       // 000000007038: BF8CC27F
	v_mfma_f32_16x16x32_bf16 v[36:39], v[224:227], a[0:3], 0   // 00000000703C: D3B50024 120201E0
	ds_read_b128 a[48:51], v17 offset:49152                    // 000000007044: DBFEC000 30000011
	ds_read_b128 a[52:55], v17 offset:50176                    // 00000000704C: DBFEC400 34000011
	v_mfma_f32_16x16x32_bf16 v[36:39], v[228:231], a[4:7], v[36:39]// 000000007054: D3B50024 149209E4
	v_add_u32_e32 v7, s66, v7                                  // 00000000705C: 680E0E42
	v_add_u32_e32 v8, s66, v8                                  // 000000007060: 68101042
	v_mfma_f32_16x16x32_bf16 v[36:39], v[232:235], a[8:11], v[36:39]// 000000007064: D3B50024 149211E8
	ds_read_b128 a[56:59], v17 offset:51200                    // 00000000706C: DBFEC800 38000011
	ds_read_b128 a[60:63], v17 offset:52224                    // 000000007074: DBFECC00 3C000011
	v_mfma_f32_16x16x32_bf16 v[36:39], v[236:239], a[12:15], v[36:39]// 00000000707C: D3B50024 149219EC
	v_add_u32_e32 v9, s66, v9                                  // 000000007084: 68121242
	v_add_u32_e32 v10, s66, v10                                // 000000007088: 68141442
	v_mfma_f32_16x16x32_bf16 v[36:39], v[240:243], a[16:19], v[36:39]// 00000000708C: D3B50024 149221F0
	ds_read_b128 v[248:251], v17 offset:53248                  // 000000007094: D9FED000 F8000011
	ds_read_b128 v[252:255], v17 offset:54272                  // 00000000709C: D9FED400 FC000011
	v_mfma_f32_16x16x32_bf16 v[36:39], v[244:247], a[20:23], v[36:39]// 0000000070A4: D3B50024 149229F4
	v_mul_f32_e32 v114, s47, v114                              // 0000000070AC: 0AE4E42F
	v_mul_f32_e32 v115, s47, v115                              // 0000000070B0: 0AE6E62F
	v_mfma_f32_16x16x32_bf16 v[40:43], v[224:227], a[24:27], 0 // 0000000070B4: D3B50028 120231E0
	ds_read_b128 v[72:75], v12 offset:26624                    // 0000000070BC: D9FE6800 4800000C
	ds_read_b128 v[76:79], v12 offset:27648                    // 0000000070C4: D9FE6C00 4C00000C
	v_mfma_f32_16x16x32_bf16 v[40:43], v[228:231], a[28:31], v[40:43]// 0000000070CC: D3B50028 14A239E4
	v_mul_f32_e32 v116, s47, v116                              // 0000000070D4: 0AE8E82F
	v_mul_f32_e32 v117, s47, v117                              // 0000000070D8: 0AEAEA2F
	v_mfma_f32_16x16x32_bf16 v[40:43], v[232:235], a[32:35], v[40:43]// 0000000070DC: D3B50028 14A241E8
	ds_read_b128 v[80:83], v12 offset:28672                    // 0000000070E4: D9FE7000 5000000C
	ds_read_b128 v[84:87], v12 offset:29696                    // 0000000070EC: D9FE7400 5400000C
	v_mfma_f32_16x16x32_bf16 v[40:43], v[236:239], a[36:39], v[40:43]// 0000000070F4: D3B50028 14A249EC
	v_mul_f32_e32 v118, s47, v118                              // 0000000070FC: 0AECEC2F
	v_mul_f32_e32 v119, s47, v119                              // 000000007100: 0AEEEE2F
	buffer_atomic_add_f32 v108, v7, s[32:35], 0 offen          // 000000007104: E1341000 80086C07
	s_waitcnt lgkmcnt(10)                                      // 00000000710C: BF8CCA7F
	v_mfma_f32_16x16x32_bf16 v[40:43], v[240:243], a[40:43], v[40:43]// 000000007110: D3B50028 14A251F0
	ds_read_b64_tr_b16 v[88:89], v13 offset:26624              // 000000007118: D9C66800 5800000D
	ds_read_b64_tr_b16 v[90:91], v13 offset:26880              // 000000007120: D9C66900 5A00000D
	v_mfma_f32_16x16x32_bf16 v[40:43], v[244:247], a[44:47], v[40:43]// 000000007128: D3B50028 14A259F4
	v_fma_f32 v36, v36, s57, -v104                             // 000000007130: D1CB0024 85A07324
	v_fma_f32 v37, v37, s57, -v105                             // 000000007138: D1CB0025 85A47325
	s_waitcnt lgkmcnt(10)                                      // 000000007140: BF8CCA7F
	v_mfma_f32_16x16x32_bf16 v[44:47], v[224:227], a[48:51], 0 // 000000007144: D3B5002C 120261E0
	ds_read_b64_tr_b16 v[92:93], v13 offset:27648              // 00000000714C: D9C66C00 5C00000D
	ds_read_b64_tr_b16 v[94:95], v13 offset:27904              // 000000007154: D9C66D00 5E00000D
	v_mfma_f32_16x16x32_bf16 v[44:47], v[228:231], a[52:55], v[44:47]// 00000000715C: D3B5002C 14B269E4
	v_fma_f32 v38, v38, s57, -v106                             // 000000007164: D1CB0026 85A87326
	v_fma_f32 v39, v39, s57, -v107                             // 00000000716C: D1CB0027 85AC7327
	s_waitcnt lgkmcnt(10)                                      // 000000007174: BF8CCA7F
	v_mfma_f32_16x16x32_bf16 v[44:47], v[232:235], a[56:59], v[44:47]// 000000007178: D3B5002C 14B271E8
	ds_read_b64_tr_b16 v[96:97], v13 offset:28672              // 000000007180: D9C67000 6000000D
	ds_read_b64_tr_b16 v[98:99], v13 offset:28928              // 000000007188: D9C67100 6200000D
	v_mfma_f32_16x16x32_bf16 v[44:47], v[236:239], a[60:63], v[44:47]// 000000007190: D3B5002C 14B279EC
	v_fma_f32 v40, v40, s57, -v104                             // 000000007198: D1CB0028 85A07328
	v_fma_f32 v41, v41, s57, -v105                             // 0000000071A0: D1CB0029 85A47329
	buffer_atomic_add_f32 v109, v8, s[32:35], 0 offen          // 0000000071A8: E1341000 80086D08
	s_waitcnt lgkmcnt(10)                                      // 0000000071B0: BF8CCA7F
	v_mfma_f32_16x16x32_bf16 v[44:47], v[240:243], v[248:251], v[44:47]// 0000000071B4: D3B5002C 04B3F1F0
	ds_read_b64_tr_b16 v[100:101], v13 offset:29696            // 0000000071BC: D9C67400 6400000D
	ds_read_b64_tr_b16 v[102:103], v13 offset:29952            // 0000000071C4: D9C67500 6600000D
	v_mfma_f32_16x16x32_bf16 v[44:47], v[244:247], v[252:255], v[44:47]// 0000000071CC: D3B5002C 04B3F9F4
	v_fma_f32 v42, v42, s57, -v106                             // 0000000071D4: D1CB002A 85A8732A
	v_fma_f32 v43, v43, s57, -v107                             // 0000000071DC: D1CB002B 85AC732B
	s_cmp_lt_i32 s74, 12                                       // 0000000071E4: BF048C4A
	s_cbranch_scc0 label_0CFA                                  // 0000000071E8: BF840075
	s_mov_b32 s60, 0xffe0fffe                                  // 0000000071EC: BEBC00FF FFE0FFFE
	s_mov_b32 s61, 0xe000fe00                                  // 0000000071F4: BEBD00FF E000FE00
	s_nop 0                                                    // 0000000071FC: BF800000
	s_add_u32 s62, 0, s46                                      // 000000007200: 803E2E80
	s_cmp_lt_i32 s74, s62                                      // 000000007204: BF043E4A
	s_cbranch_scc1 label_0CB5                                  // 000000007208: BF850028
	s_cmp_eq_i32 s74, s62                                      // 00000000720C: BF003E4A
	s_cbranch_scc1 label_0C9A                                  // 000000007210: BF85000B
	s_add_u32 s62, 4, s46                                      // 000000007214: 803E2E84
	s_cmp_lt_i32 s74, s62                                      // 000000007218: BF043E4A
	s_cbranch_scc1 label_0CD5                                  // 00000000721C: BF850043
	s_cmp_eq_i32 s74, s62                                      // 000000007220: BF003E4A
	s_cbranch_scc1 label_0CBA                                  // 000000007224: BF850026
	s_add_u32 s62, 8, s46                                      // 000000007228: 803E2E88
	s_cmp_lt_i32 s74, s62                                      // 00000000722C: BF043E4A
	s_cbranch_scc1 label_0CF5                                  // 000000007230: BF85005E
	s_cmp_eq_i32 s74, s62                                      // 000000007234: BF003E4A
	s_cbranch_scc1 label_0CDA                                  // 000000007238: BF850041
	s_branch label_0CFA                                        // 00000000723C: BF820060

0000000000007240 <label_0C9A>:
	v_cndmask_b32_e64 v36, v36, v127, s[60:61]                 // 000000007240: D1000024 00F2FF24
	s_lshl_b32 s60, s60, 1                                     // 000000007248: 8E3C813C
	s_lshl_b32 s61, s61, 1                                     // 00000000724C: 8E3D813D
	s_and_b32 s60, 0xfffeffff, s60                             // 000000007250: 863C3CFF FFFEFFFF
	s_and_b32 s61, 0xfffeffff, s61                             // 000000007258: 863D3DFF FFFEFFFF
	v_cndmask_b32_e64 v37, v37, v127, s[60:61]                 // 000000007260: D1000025 00F2FF25
	s_lshl_b32 s60, s60, 1                                     // 000000007268: 8E3C813C
	s_lshl_b32 s61, s61, 1                                     // 00000000726C: 8E3D813D
	s_and_b32 s60, 0xfffeffff, s60                             // 000000007270: 863C3CFF FFFEFFFF
	s_and_b32 s61, 0xfffeffff, s61                             // 000000007278: 863D3DFF FFFEFFFF
	v_cndmask_b32_e64 v38, v38, v127, s[60:61]                 // 000000007280: D1000026 00F2FF26
	s_lshl_b32 s60, s60, 1                                     // 000000007288: 8E3C813C
	s_lshl_b32 s61, s61, 1                                     // 00000000728C: 8E3D813D
	s_and_b32 s60, 0xfffeffff, s60                             // 000000007290: 863C3CFF FFFEFFFF
	s_and_b32 s61, 0xfffeffff, s61                             // 000000007298: 863D3DFF FFFEFFFF
	v_cndmask_b32_e64 v39, v39, v127, s[60:61]                 // 0000000072A0: D1000027 00F2FF27
	s_branch label_0CD5                                        // 0000000072A8: BF820020

00000000000072ac <label_0CB5>:
	v_mov_b32_e32 v36, v127                                    // 0000000072AC: 7E48037F
	v_mov_b32_e32 v37, v127                                    // 0000000072B0: 7E4A037F
	v_mov_b32_e32 v38, v127                                    // 0000000072B4: 7E4C037F
	v_mov_b32_e32 v39, v127                                    // 0000000072B8: 7E4E037F
	s_branch label_0CD5                                        // 0000000072BC: BF82001B

00000000000072c0 <label_0CBA>:
	v_cndmask_b32_e64 v40, v40, v127, s[60:61]                 // 0000000072C0: D1000028 00F2FF28
	s_lshl_b32 s60, s60, 1                                     // 0000000072C8: 8E3C813C
	s_lshl_b32 s61, s61, 1                                     // 0000000072CC: 8E3D813D
	s_and_b32 s60, 0xfffeffff, s60                             // 0000000072D0: 863C3CFF FFFEFFFF
	s_and_b32 s61, 0xfffeffff, s61                             // 0000000072D8: 863D3DFF FFFEFFFF
	v_cndmask_b32_e64 v41, v41, v127, s[60:61]                 // 0000000072E0: D1000029 00F2FF29
	s_lshl_b32 s60, s60, 1                                     // 0000000072E8: 8E3C813C
	s_lshl_b32 s61, s61, 1                                     // 0000000072EC: 8E3D813D
	s_and_b32 s60, 0xfffeffff, s60                             // 0000000072F0: 863C3CFF FFFEFFFF
	s_and_b32 s61, 0xfffeffff, s61                             // 0000000072F8: 863D3DFF FFFEFFFF
	v_cndmask_b32_e64 v42, v42, v127, s[60:61]                 // 000000007300: D100002A 00F2FF2A
	s_lshl_b32 s60, s60, 1                                     // 000000007308: 8E3C813C
	s_lshl_b32 s61, s61, 1                                     // 00000000730C: 8E3D813D
	s_and_b32 s60, 0xfffeffff, s60                             // 000000007310: 863C3CFF FFFEFFFF
	s_and_b32 s61, 0xfffeffff, s61                             // 000000007318: 863D3DFF FFFEFFFF
	v_cndmask_b32_e64 v43, v43, v127, s[60:61]                 // 000000007320: D100002B 00F2FF2B
	s_branch label_0CF5                                        // 000000007328: BF820020

000000000000732c <label_0CD5>:
	v_mov_b32_e32 v40, v127                                    // 00000000732C: 7E50037F
	v_mov_b32_e32 v41, v127                                    // 000000007330: 7E52037F
	v_mov_b32_e32 v42, v127                                    // 000000007334: 7E54037F
	v_mov_b32_e32 v43, v127                                    // 000000007338: 7E56037F
	s_branch label_0CF5                                        // 00000000733C: BF82001B

0000000000007340 <label_0CDA>:
	v_cndmask_b32_e64 v44, v44, v127, s[60:61]                 // 000000007340: D100002C 00F2FF2C
	s_lshl_b32 s60, s60, 1                                     // 000000007348: 8E3C813C
	s_lshl_b32 s61, s61, 1                                     // 00000000734C: 8E3D813D
	s_and_b32 s60, 0xfffeffff, s60                             // 000000007350: 863C3CFF FFFEFFFF
	s_and_b32 s61, 0xfffeffff, s61                             // 000000007358: 863D3DFF FFFEFFFF
	v_cndmask_b32_e64 v45, v45, v127, s[60:61]                 // 000000007360: D100002D 00F2FF2D
	s_lshl_b32 s60, s60, 1                                     // 000000007368: 8E3C813C
	s_lshl_b32 s61, s61, 1                                     // 00000000736C: 8E3D813D
	s_and_b32 s60, 0xfffeffff, s60                             // 000000007370: 863C3CFF FFFEFFFF
	s_and_b32 s61, 0xfffeffff, s61                             // 000000007378: 863D3DFF FFFEFFFF
	v_cndmask_b32_e64 v46, v46, v127, s[60:61]                 // 000000007380: D100002E 00F2FF2E
	s_lshl_b32 s60, s60, 1                                     // 000000007388: 8E3C813C
	s_lshl_b32 s61, s61, 1                                     // 00000000738C: 8E3D813D
	s_and_b32 s60, 0xfffeffff, s60                             // 000000007390: 863C3CFF FFFEFFFF
	s_and_b32 s61, 0xfffeffff, s61                             // 000000007398: 863D3DFF FFFEFFFF
	v_cndmask_b32_e64 v47, v47, v127, s[60:61]                 // 0000000073A0: D100002F 00F2FF2F
	s_branch label_0CFA                                        // 0000000073A8: BF820005

00000000000073ac <label_0CF5>:
	v_mov_b32_e32 v44, v127                                    // 0000000073AC: 7E58037F
	v_mov_b32_e32 v45, v127                                    // 0000000073B0: 7E5A037F
	v_mov_b32_e32 v46, v127                                    // 0000000073B4: 7E5C037F
	v_mov_b32_e32 v47, v127                                    // 0000000073B8: 7E5E037F
	s_branch label_0CFA                                        // 0000000073BC: BF820000

00000000000073c0 <label_0CFA>:
	s_cmp_lt_i32 s64, 0xc0                                     // 0000000073C0: BF04FF40 000000C0
	s_cbranch_scc0 label_0D4F                                  // 0000000073C8: BF84004D
	s_cmp_le_i32 s64, 64                                       // 0000000073CC: BF05C040
	s_cbranch_scc1 label_0D06                                  // 0000000073D0: BF850007
	s_cmp_le_i32 s64, 0x80                                     // 0000000073D4: BF05FF40 00000080
	s_cbranch_scc1 label_0D1E                                  // 0000000073DC: BF850017
	s_cmp_lt_i32 s64, 0xc0                                     // 0000000073E0: BF04FF40 000000C0
	s_cbranch_scc1 label_0D36                                  // 0000000073E8: BF85002C
	s_branch label_0D4F                                        // 0000000073EC: BF820044

00000000000073f0 <label_0D06>:
	s_mov_b32 s60, 0                                           // 0000000073F0: BEBC0080
	v_and_b32_e32 v32, 15, v0                                  // 0000000073F4: 2640008F
	v_add_u32_e64 v32, v32, s60                                // 0000000073F8: D1340020 00007920
	v_mul_i32_i24_e64 v33, s46, 16                             // 000000007400: D1060021 0001202E
	v_add_u32_e32 v32, v32, v33                                // 000000007408: 68404320
	v_cmp_lt_u32_e64 s[60:61], v32, s64                        // 00000000740C: D0C9003C 00008120
	s_nop 1                                                    // 000000007414: BF800001
	v_cndmask_b32_e64 v36, v127, v36, s[60:61]                 // 000000007418: D1000024 00F2497F
	v_cndmask_b32_e64 v37, v127, v37, s[60:61]                 // 000000007420: D1000025 00F24B7F
	v_cndmask_b32_e64 v38, v127, v38, s[60:61]                 // 000000007428: D1000026 00F24D7F
	v_cndmask_b32_e64 v39, v127, v39, s[60:61]                 // 000000007430: D1000027 00F24F7F
	s_branch label_0D31                                        // 000000007438: BF820013

000000000000743c <label_0D1E>:
	s_mov_b32 s60, 64                                          // 00000000743C: BEBC00C0
	v_and_b32_e32 v32, 15, v0                                  // 000000007440: 2640008F
	v_add_u32_e64 v32, v32, s60                                // 000000007444: D1340020 00007920
	v_mul_i32_i24_e64 v33, s46, 16                             // 00000000744C: D1060021 0001202E
	v_add_u32_e32 v32, v32, v33                                // 000000007454: 68404320
	v_cmp_lt_u32_e64 s[60:61], v32, s64                        // 000000007458: D0C9003C 00008120
	s_nop 1                                                    // 000000007460: BF800001
	v_cndmask_b32_e64 v40, v127, v40, s[60:61]                 // 000000007464: D1000028 00F2517F
	v_cndmask_b32_e64 v41, v127, v41, s[60:61]                 // 00000000746C: D1000029 00F2537F
	v_cndmask_b32_e64 v42, v127, v42, s[60:61]                 // 000000007474: D100002A 00F2557F
	v_cndmask_b32_e64 v43, v127, v43, s[60:61]                 // 00000000747C: D100002B 00F2577F
	s_branch label_0D4A                                        // 000000007484: BF820019

0000000000007488 <label_0D31>:
	v_mov_b32_e32 v40, v127                                    // 000000007488: 7E50037F
	v_mov_b32_e32 v41, v127                                    // 00000000748C: 7E52037F
	v_mov_b32_e32 v42, v127                                    // 000000007490: 7E54037F
	v_mov_b32_e32 v43, v127                                    // 000000007494: 7E56037F
	s_branch label_0D4A                                        // 000000007498: BF820014

000000000000749c <label_0D36>:
	s_mov_b32 s60, 0x80                                        // 00000000749C: BEBC00FF 00000080
	v_and_b32_e32 v32, 15, v0                                  // 0000000074A4: 2640008F
	v_add_u32_e64 v32, v32, s60                                // 0000000074A8: D1340020 00007920
	v_mul_i32_i24_e64 v33, s46, 16                             // 0000000074B0: D1060021 0001202E
	v_add_u32_e32 v32, v32, v33                                // 0000000074B8: 68404320
	v_cmp_lt_u32_e64 s[60:61], v32, s64                        // 0000000074BC: D0C9003C 00008120
	s_nop 1                                                    // 0000000074C4: BF800001
	v_cndmask_b32_e64 v44, v127, v44, s[60:61]                 // 0000000074C8: D100002C 00F2597F
	v_cndmask_b32_e64 v45, v127, v45, s[60:61]                 // 0000000074D0: D100002D 00F25B7F
	v_cndmask_b32_e64 v46, v127, v46, s[60:61]                 // 0000000074D8: D100002E 00F25D7F
	v_cndmask_b32_e64 v47, v127, v47, s[60:61]                 // 0000000074E0: D100002F 00F25F7F
	s_branch label_0D4F                                        // 0000000074E8: BF820005

00000000000074ec <label_0D4A>:
	v_mov_b32_e32 v44, v127                                    // 0000000074EC: 7E58037F
	v_mov_b32_e32 v45, v127                                    // 0000000074F0: 7E5A037F
	v_mov_b32_e32 v46, v127                                    // 0000000074F4: 7E5C037F
	v_mov_b32_e32 v47, v127                                    // 0000000074F8: 7E5E037F
	s_branch label_0D4F                                        // 0000000074FC: BF820000

0000000000007500 <label_0D4F>:
	s_addk_i32 s74, 0x1                                        // 000000007500: B74A0001
	s_waitcnt lgkmcnt(8)                                       // 000000007504: BF8CC87F
	v_mfma_f32_16x16x32_bf16 v[60:63], v[72:75], a[64:67], 0   // 000000007508: D3B5003C 12028148
	v_exp_f32_e32 v36, v36                                     // 000000007510: 7E484124
	v_exp_f32_e32 v37, v37                                     // 000000007514: 7E4A4125
	v_mfma_f32_16x16x32_bf16 v[60:63], v[76:79], a[68:71], v[60:63]// 000000007518: D3B5003C 14F2894C
	v_exp_f32_e32 v38, v38                                     // 000000007520: 7E4C4126
	v_exp_f32_e32 v39, v39                                     // 000000007524: 7E4E4127
	v_mfma_f32_16x16x32_bf16 v[60:63], v[80:83], a[72:75], v[60:63]// 000000007528: D3B5003C 14F29150
	ds_read_b64_tr_b16 v[224:225], v13 offset:12288            // 000000007530: D9C63000 E000000D
	ds_read_b64_tr_b16 v[226:227], v13 offset:12544            // 000000007538: D9C63100 E200000D
	ds_read_b64_tr_b16 v[228:229], v13 offset:13312            // 000000007540: D9C63400 E400000D
	ds_read_b64_tr_b16 v[230:231], v13 offset:13568            // 000000007548: D9C63500 E600000D
	v_mfma_f32_16x16x32_bf16 v[60:63], v[84:87], a[76:79], v[60:63]// 000000007550: D3B5003C 14F29954
	v_fma_f32 v44, v44, s57, -v104                             // 000000007558: D1CB002C 85A0732C
	v_fma_f32 v45, v45, s57, -v105                             // 000000007560: D1CB002D 85A4732D
	v_exp_f32_e32 v40, v40                                     // 000000007568: 7E504128
	v_exp_f32_e32 v41, v41                                     // 00000000756C: 7E524129
	buffer_atomic_add_f32 v110, v9, s[32:35], 0 offen          // 000000007570: E1341000 80086E09
	v_mfma_f32_16x16x32_bf16 v[64:67], v[72:75], a[80:83], 0   // 000000007578: D3B50040 1202A148
	ds_read_b64_tr_b16 v[232:233], v13 offset:14336            // 000000007580: D9C63800 E800000D
	ds_read_b64_tr_b16 v[234:235], v13 offset:14592            // 000000007588: D9C63900 EA00000D
	ds_read_b64_tr_b16 v[236:237], v13 offset:15360            // 000000007590: D9C63C00 EC00000D
	ds_read_b64_tr_b16 v[238:239], v13 offset:15616            // 000000007598: D9C63D00 EE00000D
	v_mfma_f32_16x16x32_bf16 v[64:67], v[76:79], a[84:87], v[64:67]// 0000000075A0: D3B50040 1502A94C
	v_fma_f32 v46, v46, s57, -v106                             // 0000000075A8: D1CB002E 85A8732E
	v_fma_f32 v47, v47, s57, -v107                             // 0000000075B0: D1CB002F 85AC732F
	v_exp_f32_e32 v42, v42                                     // 0000000075B8: 7E54412A
	v_exp_f32_e32 v43, v43                                     // 0000000075BC: 7E56412B
	v_mfma_f32_16x16x32_bf16 v[64:67], v[80:83], a[88:91], v[64:67]// 0000000075C0: D3B50040 1502B150
	v_exp_f32_e32 v44, v44                                     // 0000000075C8: 7E58412C
	v_exp_f32_e32 v45, v45                                     // 0000000075CC: 7E5A412D
	v_mfma_f32_16x16x32_bf16 v[64:67], v[84:87], a[92:95], v[64:67]// 0000000075D0: D3B50040 1502B954
	v_cvt_pk_bf16_f32 v120, v36, v37                           // 0000000075D8: D2680078 00024B24
	v_cvt_pk_bf16_f32 v121, v38, v39                           // 0000000075E0: D2680079 00024F26
	v_cvt_pk_bf16_f32 v122, v40, v41                           // 0000000075E8: D268007A 00025328
	v_cvt_pk_bf16_f32 v123, v42, v43                           // 0000000075F0: D268007B 0002572A
	v_mfma_f32_16x16x32_bf16 v[68:71], v[72:75], a[96:99], 0   // 0000000075F8: D3B50044 1202C148
	v_exp_f32_e32 v46, v46                                     // 000000007600: 7E5C412E
	v_exp_f32_e32 v47, v47                                     // 000000007604: 7E5E412F
	v_mfma_f32_16x16x32_bf16 v[68:71], v[76:79], a[100:103], v[68:71]// 000000007608: D3B50044 1512C94C
	v_permlane16_swap_b32_e32 v120, v122                       // 000000007610: 7EF0B37A
	v_permlane16_swap_b32_e32 v121, v123                       // 000000007614: 7EF2B37B
	v_mfma_f32_16x16x32_bf16 v[68:71], v[80:83], a[104:107], v[68:71]// 000000007618: D3B50044 1512D150
	ds_read_b64_tr_b16 v[240:241], v13 offset:16384            // 000000007620: D9C64000 F000000D
	ds_read_b64_tr_b16 v[242:243], v13 offset:16640            // 000000007628: D9C64100 F200000D
	ds_read_b64_tr_b16 v[244:245], v13 offset:17408            // 000000007630: D9C64400 F400000D
	ds_read_b64_tr_b16 v[246:247], v13 offset:17664            // 000000007638: D9C64500 F600000D
	v_mfma_f32_16x16x32_bf16 v[68:71], v[84:87], a[108:111], v[68:71]// 000000007640: D3B50044 1512D954
	v_cvt_pk_bf16_f32 v124, v44, v45                           // 000000007648: D268007C 00025B2C
	v_cvt_pk_bf16_f32 v125, v46, v47                           // 000000007650: D268007D 00025F2E
	buffer_atomic_add_f32 v111, v10, s[32:35], 0 offen         // 000000007658: E1341000 80086F0A
	s_waitcnt lgkmcnt(12)                                      // 000000007660: BF8CCC7F
	v_mfma_f32_32x32x16_bf16 v[128:143], v[88:91], v[120:123], v[128:143]// 000000007664: D3B70080 0602F158
	ds_read_b64_tr_b16 a[0:1], v19                             // 00000000766C: DBC60000 00000013
	ds_read_b64_tr_b16 a[2:3], v19 offset:256                  // 000000007674: DBC60100 02000013
	ds_read_b64_tr_b16 a[4:5], v19 offset:12288                // 00000000767C: DBC63000 04000013
	ds_read_b64_tr_b16 a[6:7], v19 offset:12544                // 000000007684: DBC63100 06000013
	ds_read_b64_tr_b16 a[8:9], v19 offset:24576                // 00000000768C: DBC66000 08000013
	buffer_atomic_add_f32 v112, v7, s[32:35], 0 offen offset:64// 000000007694: E1341040 80087007
	v_mfma_f32_32x32x16_bf16 v[144:159], v[92:95], v[120:123], v[144:159]// 00000000769C: D3B70090 0642F15C
	v_subrev_f32_dpp v60, v126, v60 quad_perm:[0,0,0,0] row_mask:0xf bank_mask:0xf// 0000000076A4: 067878FA FF00007E
	v_subrev_f32_dpp v61, v126, v61 quad_perm:[1,1,1,1] row_mask:0xf bank_mask:0xf// 0000000076AC: 067A7AFA FF00557E
	v_subrev_f32_dpp v62, v126, v62 quad_perm:[2,2,2,2] row_mask:0xf bank_mask:0xf// 0000000076B4: 067C7CFA FF00AA7E
	v_subrev_f32_dpp v63, v126, v63 quad_perm:[3,3,3,3] row_mask:0xf bank_mask:0xf// 0000000076BC: 067E7EFA FF00FF7E
	v_subrev_f32_dpp v64, v126, v64 quad_perm:[0,0,0,0] row_mask:0xf bank_mask:0xf// 0000000076C4: 068080FA FF00007E
	v_subrev_f32_dpp v65, v126, v65 quad_perm:[1,1,1,1] row_mask:0xf bank_mask:0xf// 0000000076CC: 068282FA FF00557E
	v_subrev_f32_dpp v66, v126, v66 quad_perm:[2,2,2,2] row_mask:0xf bank_mask:0xf// 0000000076D4: 068484FA FF00AA7E
	v_subrev_f32_dpp v67, v126, v67 quad_perm:[3,3,3,3] row_mask:0xf bank_mask:0xf// 0000000076DC: 068686FA FF00FF7E
	v_mul_f32_e32 v60, v36, v60                                // 0000000076E4: 0A787924
	v_mul_f32_e32 v61, v37, v61                                // 0000000076E8: 0A7A7B25
	v_mul_f32_e32 v62, v38, v62                                // 0000000076EC: 0A7C7D26
	v_mul_f32_e32 v63, v39, v63                                // 0000000076F0: 0A7E7F27
	v_mfma_f32_32x32x16_bf16 v[160:175], v[96:99], v[120:123], v[160:175]// 0000000076F4: D3B700A0 0682F160
	ds_read_b64_tr_b16 a[10:11], v19 offset:24832              // 0000000076FC: DBC66100 0A000013
	ds_read_b64_tr_b16 a[12:13], v19 offset:36864              // 000000007704: DBC69000 0C000013
	ds_read_b64_tr_b16 a[14:15], v19 offset:37120              // 00000000770C: DBC69100 0E000013
	ds_read_b64_tr_b16 a[16:17], v19 offset:49152              // 000000007714: DBC6C000 10000013
	ds_read_b64_tr_b16 a[18:19], v19 offset:49408              // 00000000771C: DBC6C100 12000013
	ds_read_b32 v104, v16 offset:37632                         // 000000007724: D86C9300 68000010
	v_mfma_f32_32x32x16_bf16 v[176:191], v[100:103], v[120:123], v[176:191]// 00000000772C: D3B700B0 06C2F164
	v_mul_f32_e32 v64, v40, v64                                // 000000007734: 0A808128
	v_mul_f32_e32 v65, v41, v65                                // 000000007738: 0A828329
	v_mul_f32_e32 v66, v42, v66                                // 00000000773C: 0A84852A
	v_mul_f32_e32 v67, v43, v67                                // 000000007740: 0A86872B
	v_permlane16_swap_b32_e32 v88, v90                         // 000000007744: 7EB0B35A
	v_permlane16_swap_b32_e32 v89, v91                         // 000000007748: 7EB2B35B
	v_cvt_pk_bf16_f32 v60, v60, v61                            // 00000000774C: D268003C 00027B3C
	v_cvt_pk_bf16_f32 v61, v62, v63                            // 000000007754: D268003D 00027F3E
	v_cvt_pk_bf16_f32 v62, v64, v65                            // 00000000775C: D268003E 00028340
	v_cvt_pk_bf16_f32 v63, v66, v67                            // 000000007764: D268003F 00028742
	v_permlane16_swap_b32_e32 v92, v94                         // 00000000776C: 7EB8B35E
	v_permlane16_swap_b32_e32 v93, v95                         // 000000007770: 7EBAB35F
	v_mfma_f32_16x16x16_bf16 v[192:195], v[88:89], v[124:125], v[192:195]// 000000007774: D3E100C0 0702F958
	buffer_atomic_add_f32 v113, v8, s[32:35], 0 offen offset:64// 00000000777C: E1341040 80087108
	ds_write_b64 v15, v[60:61] offset:30720                    // 000000007784: D89A7800 00003C0F
	ds_write_b64 v15, v[62:63] offset:33024                    // 00000000778C: D89A8100 00003E0F
	v_mfma_f32_16x16x16_bf16 v[196:199], v[90:91], v[124:125], v[196:199]// 000000007794: D3E100C4 0712F95A
	v_permlane16_swap_b32_e32 v96, v98                         // 00000000779C: 7EC0B362
	v_permlane16_swap_b32_e32 v97, v99                         // 0000000077A0: 7EC2B363
	v_subrev_f32_dpp v68, v126, v68 quad_perm:[0,0,0,0] row_mask:0xf bank_mask:0xf// 0000000077A4: 068888FA FF00007E
	v_subrev_f32_dpp v69, v126, v69 quad_perm:[1,1,1,1] row_mask:0xf bank_mask:0xf// 0000000077AC: 068A8AFA FF00557E
	v_mfma_f32_16x16x16_bf16 v[200:203], v[92:93], v[124:125], v[200:203]// 0000000077B4: D3E100C8 0722F95C
	v_permlane16_swap_b32_e32 v100, v102                       // 0000000077BC: 7EC8B366
	v_permlane16_swap_b32_e32 v101, v103                       // 0000000077C0: 7ECAB367
	v_subrev_f32_dpp v70, v126, v70 quad_perm:[2,2,2,2] row_mask:0xf bank_mask:0xf// 0000000077C4: 068C8CFA FF00AA7E
	v_subrev_f32_dpp v71, v126, v71 quad_perm:[3,3,3,3] row_mask:0xf bank_mask:0xf// 0000000077CC: 068E8EFA FF00FF7E
	v_mfma_f32_16x16x16_bf16 v[204:207], v[94:95], v[124:125], v[204:207]// 0000000077D4: D3E100CC 0732F95E
	v_permlane16_swap_b32_e32 v60, v62                         // 0000000077DC: 7E78B33E
	v_permlane16_swap_b32_e32 v61, v63                         // 0000000077E0: 7E7AB33F
	v_mfma_f32_16x16x16_bf16 v[208:211], v[96:97], v[124:125], v[208:211]// 0000000077E4: D3E100D0 0742F960
	ds_read_b64_tr_b16 a[20:21], v19 offset:61440              // 0000000077EC: DBC6F000 14000013
	ds_read_b64_tr_b16 a[22:23], v19 offset:61696              // 0000000077F4: DBC6F100 16000013
	ds_read_b64_tr_b16 a[24:25], v20                           // 0000000077FC: DBC60000 18000014
	v_mfma_f32_16x16x16_bf16 v[212:215], v[98:99], v[124:125], v[212:215]// 000000007804: D3E100D4 0752F962
	v_mul_f32_e32 v68, v44, v68                                // 00000000780C: 0A88892C
	v_mul_f32_e32 v69, v45, v69                                // 000000007810: 0A8A8B2D
	v_mul_f32_e32 v70, v46, v70                                // 000000007814: 0A8C8D2E
	v_mfma_f32_16x16x16_bf16 v[216:219], v[100:101], v[124:125], v[216:219]// 000000007818: D3E100D8 0762F964
	ds_read_b32 v126, v16 offset:37888                         // 000000007820: D86C9400 7E000010
	ds_read_b64_tr_b16 a[26:27], v20 offset:256                // 000000007828: DBC60100 1A000014
	ds_read_b64_tr_b16 a[28:29], v20 offset:12288              // 000000007830: DBC63000 1C000014
	v_mfma_f32_16x16x16_bf16 v[220:223], v[102:103], v[124:125], v[220:223]// 000000007838: D3E100DC 0772F966
	v_mul_f32_e32 v71, v47, v71                                // 000000007840: 0A8E8F2F
	v_cvt_pk_bf16_f32 v64, v68, v69                            // 000000007844: D2680040 00028B44
	v_cvt_pk_bf16_f32 v65, v70, v71                            // 00000000784C: D2680041 00028F46
	s_waitcnt lgkmcnt(8)                                       // 000000007854: BF8CC87F
	v_mfma_f32_32x32x16_bf16 a[112:127], v[224:227], v[60:63], a[112:127]// 000000007858: D3B78070 05C279E0
	ds_read_b64_tr_b16 a[30:31], v20 offset:12544              // 000000007860: DBC63100 1E000014
	ds_write_b64 v15, v[64:65] offset:35328                    // 000000007868: D89A8A00 0000400F
	ds_read_b64_tr_b16 a[32:33], v20 offset:24576              // 000000007870: DBC66000 20000014
	ds_read_b64_tr_b16 a[34:35], v20 offset:24832              // 000000007878: DBC66100 22000014
	v_mfma_f32_32x32x16_bf16 a[128:143], v[228:231], v[60:63], a[128:143]// 000000007880: D3B78080 060279E4
	v_mul_f32_e32 v104, s48, v104                              // 000000007888: 0AD0D030
	buffer_atomic_add_f32 v114, v9, s[32:35], 0 offen offset:64// 00000000788C: E1341040 80087209
	v_mfma_f32_32x32x16_bf16 a[144:159], v[232:235], v[60:63], a[144:159]// 000000007894: D3B78090 064279E8
	ds_read_b64_tr_b16 a[36:37], v20 offset:36864              // 00000000789C: DBC69000 24000014
	ds_read_b64_tr_b16 a[38:39], v20 offset:37120              // 0000000078A4: DBC69100 26000014
	ds_read_b64_tr_b16 a[40:41], v20 offset:49152              // 0000000078AC: DBC6C000 28000014
	ds_read_b64_tr_b16 a[42:43], v20 offset:49408              // 0000000078B4: DBC6C100 2A000014
	ds_read_b64_tr_b16 a[44:45], v20 offset:61440              // 0000000078BC: DBC6F000 2C000014
	ds_read_b64_tr_b16 a[46:47], v20 offset:61696              // 0000000078C4: DBC6F100 2E000014
	v_mfma_f32_32x32x16_bf16 a[160:175], v[236:239], v[60:63], a[160:175]// 0000000078CC: D3B780A0 068279EC
	.long 0x7fc0b3e2                                           // 0000000078D4: 7FC0B3E2
	.long 0x7fc2b3e3                                           // 0000000078D8: 7FC2B3E3
	buffer_atomic_add_f32 v115, v10, s[32:35], 0 offen offset:64// 0000000078DC: E1341040 8008730A
	s_waitcnt lgkmcnt(8)                                       // 0000000078E4: BF8CC87F
	s_barrier                                                  // 0000000078E8: BF8A0000
	v_mfma_f32_32x32x16_bf16 a[176:191], v[240:243], v[60:63], a[176:191]// 0000000078EC: D3B780B0 06C279F0
	ds_read_b64_tr_b16 v[36:37], v14 offset:30720              // 0000000078F4: D9C67800 2400000E
	ds_read_b64_tr_b16 v[38:39], v14 offset:30752              // 0000000078FC: D9C67820 2600000E
	ds_read_b64_tr_b16 v[40:41], v14 offset:31872              // 000000007904: D9C67C80 2800000E
	ds_read_b64_tr_b16 v[42:43], v14 offset:31904              // 00000000790C: D9C67CA0 2A00000E
	ds_read_b64_tr_b16 v[44:45], v14 offset:33024              // 000000007914: D9C68100 2C00000E
	ds_read_b64_tr_b16 v[46:47], v14 offset:33056              // 00000000791C: D9C68120 2E00000E
	v_mfma_f32_32x32x16_bf16 a[192:207], v[244:247], v[60:63], a[192:207]// 000000007924: D3B780C0 070279F4
	.long 0x7fc8b3e6                                           // 00000000792C: 7FC8B3E6
	.long 0x7fcab3e7                                           // 000000007930: 7FCAB3E7
	v_mov_b32_dpp v107, v104 quad_perm:[3,3,3,3] row_mask:0xf bank_mask:0xf// 000000007934: 7ED602FA FF00FF68
	v_mov_b32_dpp v106, v104 quad_perm:[2,2,2,2] row_mask:0xf bank_mask:0xf// 00000000793C: 7ED402FA FF00AA68
	buffer_atomic_add_f32 v116, v7, s[32:35], 0 offen offset:128// 000000007944: E1341080 80087407
	v_mfma_f32_16x16x16_bf16 a[208:211], v[224:225], v[64:65], a[208:211]// 00000000794C: D3E180D0 074281E0
	ds_read_b64_tr_b16 v[48:49], v14 offset:34176              // 000000007954: D9C68580 3000000E
	ds_read_b64_tr_b16 v[50:51], v14 offset:34208              // 00000000795C: D9C685A0 3200000E
	ds_read_b64_tr_b16 v[52:53], v14 offset:35328              // 000000007964: D9C68A00 3400000E
	v_mfma_f32_16x16x16_bf16 a[212:215], v[226:227], v[64:65], a[212:215]// 00000000796C: D3E180D4 075281E2
	.long 0x7fd0b3ea                                           // 000000007974: 7FD0B3EA
	.long 0x7fd2b3eb                                           // 000000007978: 7FD2B3EB
	v_mfma_f32_16x16x16_bf16 a[216:219], v[228:229], v[64:65], a[216:219]// 00000000797C: D3E180D8 076281E4
	ds_read_b64_tr_b16 v[54:55], v14 offset:35360              // 000000007984: D9C68A20 3600000E
	ds_read_b64_tr_b16 v[56:57], v14 offset:36480              // 00000000798C: D9C68E80 3800000E
	ds_read_b64_tr_b16 v[58:59], v14 offset:36512              // 000000007994: D9C68EA0 3A00000E
	v_mfma_f32_16x16x16_bf16 a[220:223], v[230:231], v[64:65], a[220:223]// 00000000799C: D3E180DC 077281E6
	v_permlane16_swap_b32_e32 v236, v238                       // 0000000079A4: 7FD8B3EE
	v_permlane16_swap_b32_e32 v237, v239                       // 0000000079A8: 7FDAB3EF
	buffer_atomic_add_f32 v117, v8, s[32:35], 0 offen offset:128// 0000000079AC: E1341080 80087508
	v_mfma_f32_16x16x16_bf16 a[224:227], v[232:233], v[64:65], a[224:227]// 0000000079B4: D3E180E0 078281E8
	ds_read_b64_tr_b16 a[48:49], v21                           // 0000000079BC: DBC60000 30000015
	ds_read_b64_tr_b16 a[50:51], v21 offset:256                // 0000000079C4: DBC60100 32000015
	ds_read_b64_tr_b16 a[52:53], v21 offset:12288              // 0000000079CC: DBC63000 34000015
	v_mfma_f32_16x16x16_bf16 a[228:231], v[234:235], v[64:65], a[228:231]// 0000000079D4: D3E180E4 079281EA
	v_permlane16_swap_b32_e32 v240, v242                       // 0000000079DC: 7FE0B3F2
	v_permlane16_swap_b32_e32 v241, v243                       // 0000000079E0: 7FE2B3F3
	v_mfma_f32_16x16x16_bf16 a[232:235], v[236:237], v[64:65], a[232:235]// 0000000079E4: D3E180E8 07A281EC
	ds_read_b64_tr_b16 a[54:55], v21 offset:12544              // 0000000079EC: DBC63100 36000015
	ds_read_b64_tr_b16 a[56:57], v21 offset:24576              // 0000000079F4: DBC66000 38000015
	ds_read_b64_tr_b16 a[58:59], v21 offset:24832              // 0000000079FC: DBC66100 3A000015
	v_mfma_f32_16x16x16_bf16 a[236:239], v[238:239], v[64:65], a[236:239]// 000000007A04: D3E180EC 07B281EE
	v_permlane16_swap_b32_e32 v244, v246                       // 000000007A0C: 7FE8B3F6
	v_permlane16_swap_b32_e32 v245, v247                       // 000000007A10: 7FEAB3F7
	v_mfma_f32_16x16x16_bf16 a[240:243], v[240:241], v[64:65], a[240:243]// 000000007A14: D3E180F0 07C281F0
	ds_read_b64_tr_b16 a[60:61], v21 offset:36864              // 000000007A1C: DBC69000 3C000015
	ds_read_b64_tr_b16 a[62:63], v21 offset:37120              // 000000007A24: DBC69100 3E000015
	ds_read_b64_tr_b16 v[248:249], v21 offset:49152            // 000000007A2C: D9C6C000 F8000015
	v_mfma_f32_16x16x16_bf16 a[244:247], v[242:243], v[64:65], a[244:247]// 000000007A34: D3E180F4 07D281F2
	v_mov_b32_dpp v105, v104 quad_perm:[1,1,1,1] row_mask:0xf bank_mask:0xf// 000000007A3C: 7ED202FA FF005568
	buffer_atomic_add_f32 v118, v9, s[32:35], 0 offen offset:128// 000000007A44: E1341080 80087609
	v_mfma_f32_16x16x16_bf16 a[248:251], v[244:245], v[64:65], a[248:251]// 000000007A4C: D3E180F8 07E281F4
	ds_read_b64_tr_b16 v[250:251], v21 offset:49408            // 000000007A54: D9C6C100 FA000015
	ds_read_b64_tr_b16 v[252:253], v21 offset:61440            // 000000007A5C: D9C6F000 FC000015
	ds_read_b64_tr_b16 v[254:255], v21 offset:61696            // 000000007A64: D9C6F100 FE000015
	v_mfma_f32_16x16x16_bf16 a[252:255], v[246:247], v[64:65], a[252:255]// 000000007A6C: D3E180FC 07F281F6
	v_mov_b32_dpp v104, v104 quad_perm:[0,0,0,0] row_mask:0xf bank_mask:0xf// 000000007A74: 7ED002FA FF000068
	buffer_atomic_add_f32 v119, v10, s[32:35], 0 offen offset:128// 000000007A7C: E1341080 8008770A
	s_waitcnt vmcnt(12) lgkmcnt(6)                             // 000000007A84: BF8C067C
	s_barrier                                                  // 000000007A88: BF8A0000
	v_mfma_f32_16x16x32_bf16 v[108:111], v[36:39], a[0:3], 0   // 000000007A8C: D3B5006C 12020124
	ds_read_b128 v[224:227], v12                               // 000000007A94: D9FE0000 E000000C
	ds_read_b128 v[228:231], v12 offset:1024                   // 000000007A9C: D9FE0400 E400000C
	v_mfma_f32_16x16x32_bf16 v[108:111], v[40:43], a[4:7], v[108:111]// 000000007AA4: D3B5006C 15B20928
	s_mov_b32 m0, s87                                          // 000000007AAC: BEFC0057
	buffer_load_dwordx4 v1, s[8:11], 0 idxen lds               // 000000007AB0: E05D2000 80020001
	v_mfma_f32_16x16x32_bf16 v[108:111], v[44:47], a[8:11], v[108:111]// 000000007AB8: D3B5006C 15B2112C
	ds_read_b128 v[232:235], v12 offset:2048                   // 000000007AC0: D9FE0800 E800000C
	ds_read_b128 v[236:239], v12 offset:3072                   // 000000007AC8: D9FE0C00 EC00000C
	v_mfma_f32_16x16x32_bf16 v[108:111], v[48:51], a[12:15], v[108:111]// 000000007AD0: D3B5006C 15B21930
	s_mov_b32 m0, s88                                          // 000000007AD8: BEFC0058
	buffer_load_dword v2, s[8:11], 0 idxen lds                 // 000000007ADC: E0512000 80020002
	v_mfma_f32_16x16x32_bf16 v[108:111], v[52:55], a[16:19], v[108:111]// 000000007AE4: D3B5006C 15B22134
	ds_read_b128 v[240:243], v12 offset:4096                   // 000000007AEC: D9FE1000 F000000C
	ds_read_b128 v[244:247], v12 offset:5120                   // 000000007AF4: D9FE1400 F400000C
	v_mfma_f32_16x16x32_bf16 v[108:111], v[56:59], a[20:23], v[108:111]// 000000007AFC: D3B5006C 15B22938
	s_mov_b32 m0, s89                                          // 000000007B04: BEFC0059
	buffer_load_dword v3, s[8:11], 0 idxen lds                 // 000000007B08: E0512000 80020003
	v_mfma_f32_16x16x32_bf16 v[112:115], v[36:39], a[24:27], 0 // 000000007B10: D3B50070 12023124
	ds_read_b128 a[0:3], v17                                   // 000000007B18: DBFE0000 00000011
	ds_read_b128 a[4:7], v17 offset:1024                       // 000000007B20: DBFE0400 04000011
	v_mfma_f32_16x16x32_bf16 v[112:115], v[40:43], a[28:31], v[112:115]// 000000007B28: D3B50070 15C23928
	s_mov_b32 m0, s92                                          // 000000007B30: BEFC005C
	buffer_load_dwordx4 v4, s[20:23], 0 idxen lds              // 000000007B34: E05D2000 80050004
	v_mfma_f32_16x16x32_bf16 v[112:115], v[44:47], a[32:35], v[112:115]// 000000007B3C: D3B50070 15C2412C
	ds_read_b128 a[8:11], v17 offset:2048                      // 000000007B44: DBFE0800 08000011
	ds_read_b128 a[12:15], v17 offset:3072                     // 000000007B4C: DBFE0C00 0C000011
	v_mfma_f32_16x16x32_bf16 v[112:115], v[48:51], a[36:39], v[112:115]// 000000007B54: D3B50070 15C24930
	v_mul_f32_e32 v108, s47, v108                              // 000000007B5C: 0AD8D82F
	v_mul_f32_e32 v109, s47, v109                              // 000000007B60: 0ADADA2F
	s_mov_b32 m0, s80                                          // 000000007B64: BEFC0050
	buffer_load_dword v11, s[24:27], 0 idxen lds               // 000000007B68: E0512000 8006000B
	v_mfma_f32_16x16x32_bf16 v[112:115], v[52:55], a[40:43], v[112:115]// 000000007B70: D3B50070 15C25134
	ds_read_b128 a[16:19], v17 offset:4096                     // 000000007B78: DBFE1000 10000011
	ds_read_b128 a[20:23], v17 offset:5120                     // 000000007B80: DBFE1400 14000011
	v_mfma_f32_16x16x32_bf16 v[112:115], v[56:59], a[44:47], v[112:115]// 000000007B88: D3B50070 15C25938
	s_add_u32 s60, 64, s59                                     // 000000007B90: 803C3BC0
	s_cmp_lt_u32 s60, s58                                      // 000000007B94: BF0A3A3C
	s_cselect_b32 s68, s68, 0                                  // 000000007B98: 85448044
	s_cselect_b32 s101, s101, 0                                // 000000007B9C: 85658065
	s_cselect_b32 s69, s69, 0                                  // 000000007BA0: 85458045
	v_mfma_f32_16x16x32_bf16 v[116:119], v[36:39], a[48:51], 0 // 000000007BA4: D3B50074 12026124
	ds_read_b128 a[24:27], v17 offset:24576                    // 000000007BAC: DBFE6000 18000011
	ds_read_b128 a[28:31], v17 offset:25600                    // 000000007BB4: DBFE6400 1C000011
	v_mfma_f32_16x16x32_bf16 v[116:119], v[40:43], a[52:55], v[116:119]// 000000007BBC: D3B50074 15D26928
	v_add_u32_e32 v1, s68, v1                                  // 000000007BC4: 68020244
	v_add_u32_e32 v2, s68, v2                                  // 000000007BC8: 68040444
	v_add_u32_e32 v3, s68, v3                                  // 000000007BCC: 68060644
	v_add_u32_e32 v4, s101, v4                                 // 000000007BD0: 68080865
	v_add_u32_e32 v11, s69, v11                                // 000000007BD4: 68161645
	s_waitcnt lgkmcnt(14)                                      // 000000007BD8: BF8CCE7F
	v_mfma_f32_16x16x32_bf16 v[116:119], v[44:47], a[56:59], v[116:119]// 000000007BDC: D3B50074 15D2712C
	ds_read_b128 a[32:35], v17 offset:26624                    // 000000007BE4: DBFE6800 20000011
	ds_read_b128 a[36:39], v17 offset:27648                    // 000000007BEC: DBFE6C00 24000011
	v_mfma_f32_16x16x32_bf16 v[116:119], v[48:51], a[60:63], v[116:119]// 000000007BF4: D3B50074 15D27930
	v_mul_f32_e32 v110, s47, v110                              // 000000007BFC: 0ADCDC2F
	v_mul_f32_e32 v111, s47, v111                              // 000000007C00: 0ADEDE2F
	s_cmp_ge_u32 s59, s73                                      // 000000007C04: BF09493B
	s_cselect_b32 s66, s67, s66                                // 000000007C08: 85424243
	v_mfma_f32_16x16x32_bf16 v[116:119], v[52:55], v[248:251], v[116:119]// 000000007C0C: D3B50074 05D3F134
	ds_read_b128 a[40:43], v17 offset:28672                    // 000000007C14: DBFE7000 28000011
	ds_read_b128 a[44:47], v17 offset:29696                    // 000000007C1C: DBFE7400 2C000011
	v_mfma_f32_16x16x32_bf16 v[116:119], v[56:59], v[252:255], v[116:119]// 000000007C24: D3B50074 05D3F938
	s_addk_i32 s59, 0x10                                       // 000000007C2C: B73B0010
	v_mul_f32_e32 v112, s47, v112                              // 000000007C30: 0AE0E02F
	v_mul_f32_e32 v113, s47, v113                              // 000000007C34: 0AE2E22F
	s_cmp_lt_i32 s59, s58                                      // 000000007C38: BF043A3B
	s_cbranch_scc0 label_0F20                                  // 000000007C3C: BF840001
	s_branch label_060A                                        // 000000007C40: BF82F6F9

0000000000007c44 <label_0F20>:
	s_nop 0                                                    // 000000007C44: BF800000
	s_nop 0                                                    // 000000007C48: BF800000
	s_branch label_1839                                        // 000000007C4C: BF820907

0000000000007c50 <label_0F23>:
	s_waitcnt lgkmcnt(2)                                       // 000000007C50: BF8CC27F
	v_mfma_f32_16x16x32_bf16 v[36:39], v[224:227], a[0:3], 0   // 000000007C54: D3B50024 120201E0
	v_add_u32_e32 v7, s66, v7                                  // 000000007C5C: 680E0E42
	v_add_u32_e32 v8, s66, v8                                  // 000000007C60: 68101042
	v_mfma_f32_16x16x32_bf16 v[36:39], v[228:231], a[4:7], v[36:39]// 000000007C64: D3B50024 149209E4
	ds_read_b128 a[48:51], v17 offset:49152                    // 000000007C6C: DBFEC000 30000011
	ds_read_b128 a[52:55], v17 offset:50176                    // 000000007C74: DBFEC400 34000011
	v_mfma_f32_16x16x32_bf16 v[36:39], v[232:235], a[8:11], v[36:39]// 000000007C7C: D3B50024 149211E8
	v_add_u32_e32 v9, s66, v9                                  // 000000007C84: 68121242
	v_add_u32_e32 v10, s66, v10                                // 000000007C88: 68141442
	v_mfma_f32_16x16x32_bf16 v[36:39], v[236:239], a[12:15], v[36:39]// 000000007C8C: D3B50024 149219EC
	ds_read_b128 a[56:59], v17 offset:51200                    // 000000007C94: DBFEC800 38000011
	ds_read_b128 a[60:63], v17 offset:52224                    // 000000007C9C: DBFECC00 3C000011
	v_mfma_f32_16x16x32_bf16 v[36:39], v[240:243], a[16:19], v[36:39]// 000000007CA4: D3B50024 149221F0
	v_mul_f32_e32 v114, s47, v114                              // 000000007CAC: 0AE4E42F
	v_mul_f32_e32 v115, s47, v115                              // 000000007CB0: 0AE6E62F
	v_mfma_f32_16x16x32_bf16 v[36:39], v[244:247], a[20:23], v[36:39]// 000000007CB4: D3B50024 149229F4
	ds_read_b128 v[248:251], v17 offset:53248                  // 000000007CBC: D9FED000 F8000011
	ds_read_b128 v[252:255], v17 offset:54272                  // 000000007CC4: D9FED400 FC000011
	v_mfma_f32_16x16x32_bf16 v[40:43], v[224:227], a[24:27], 0 // 000000007CCC: D3B50028 120231E0
	v_mul_f32_e32 v116, s47, v116                              // 000000007CD4: 0AE8E82F
	v_mul_f32_e32 v117, s47, v117                              // 000000007CD8: 0AEAEA2F
	v_mfma_f32_16x16x32_bf16 v[40:43], v[228:231], a[28:31], v[40:43]// 000000007CDC: D3B50028 14A239E4
	ds_read_b128 v[72:75], v12 offset:18432                    // 000000007CE4: D9FE4800 4800000C
	ds_read_b128 v[76:79], v12 offset:19456                    // 000000007CEC: D9FE4C00 4C00000C
	v_mfma_f32_16x16x32_bf16 v[40:43], v[232:235], a[32:35], v[40:43]// 000000007CF4: D3B50028 14A241E8
	v_mul_f32_e32 v118, s47, v118                              // 000000007CFC: 0AECEC2F
	v_mul_f32_e32 v119, s47, v119                              // 000000007D00: 0AEEEE2F
	buffer_atomic_add_f32 v108, v7, s[32:35], 0 offen          // 000000007D04: E1341000 80086C07
	v_mfma_f32_16x16x32_bf16 v[40:43], v[236:239], a[36:39], v[40:43]// 000000007D0C: D3B50028 14A249EC
	ds_read_b128 v[80:83], v12 offset:20480                    // 000000007D14: D9FE5000 5000000C
	ds_read_b128 v[84:87], v12 offset:21504                    // 000000007D1C: D9FE5400 5400000C
	s_waitcnt lgkmcnt(10)                                      // 000000007D24: BF8CCA7F
	v_mfma_f32_16x16x32_bf16 v[40:43], v[240:243], a[40:43], v[40:43]// 000000007D28: D3B50028 14A251F0
	v_fma_f32 v36, v36, s57, -v104                             // 000000007D30: D1CB0024 85A07324
	v_fma_f32 v37, v37, s57, -v105                             // 000000007D38: D1CB0025 85A47325
	v_mfma_f32_16x16x32_bf16 v[40:43], v[244:247], a[44:47], v[40:43]// 000000007D40: D3B50028 14A259F4
	ds_read_b64_tr_b16 v[88:89], v13 offset:18432              // 000000007D48: D9C64800 5800000D
	ds_read_b64_tr_b16 v[90:91], v13 offset:18688              // 000000007D50: D9C64900 5A00000D
	s_waitcnt lgkmcnt(10)                                      // 000000007D58: BF8CCA7F
	v_mfma_f32_16x16x32_bf16 v[44:47], v[224:227], a[48:51], 0 // 000000007D5C: D3B5002C 120261E0
	v_fma_f32 v38, v38, s57, -v106                             // 000000007D64: D1CB0026 85A87326
	v_fma_f32 v39, v39, s57, -v107                             // 000000007D6C: D1CB0027 85AC7327
	v_mfma_f32_16x16x32_bf16 v[44:47], v[228:231], a[52:55], v[44:47]// 000000007D74: D3B5002C 14B269E4
	ds_read_b64_tr_b16 v[92:93], v13 offset:19456              // 000000007D7C: D9C64C00 5C00000D
	ds_read_b64_tr_b16 v[94:95], v13 offset:19712              // 000000007D84: D9C64D00 5E00000D
	s_waitcnt lgkmcnt(10)                                      // 000000007D8C: BF8CCA7F
	v_mfma_f32_16x16x32_bf16 v[44:47], v[232:235], a[56:59], v[44:47]// 000000007D90: D3B5002C 14B271E8
	v_fma_f32 v40, v40, s57, -v104                             // 000000007D98: D1CB0028 85A07328
	v_fma_f32 v41, v41, s57, -v105                             // 000000007DA0: D1CB0029 85A47329
	buffer_atomic_add_f32 v109, v8, s[32:35], 0 offen          // 000000007DA8: E1341000 80086D08
	v_mfma_f32_16x16x32_bf16 v[44:47], v[236:239], a[60:63], v[44:47]// 000000007DB0: D3B5002C 14B279EC
	ds_read_b64_tr_b16 v[96:97], v13 offset:20480              // 000000007DB8: D9C65000 6000000D
	ds_read_b64_tr_b16 v[98:99], v13 offset:20736              // 000000007DC0: D9C65100 6200000D
	s_waitcnt lgkmcnt(10)                                      // 000000007DC8: BF8CCA7F
	v_mfma_f32_16x16x32_bf16 v[44:47], v[240:243], v[248:251], v[44:47]// 000000007DCC: D3B5002C 04B3F1F0
	v_fma_f32 v42, v42, s57, -v106                             // 000000007DD4: D1CB002A 85A8732A
	v_fma_f32 v43, v43, s57, -v107                             // 000000007DDC: D1CB002B 85AC732B
	v_mfma_f32_16x16x32_bf16 v[44:47], v[244:247], v[252:255], v[44:47]// 000000007DE4: D3B5002C 04B3F9F4
	ds_read_b64_tr_b16 v[100:101], v13 offset:21504            // 000000007DEC: D9C65400 6400000D
	ds_read_b64_tr_b16 v[102:103], v13 offset:21760            // 000000007DF4: D9C65500 6600000D
	s_cmp_lt_i32 s74, 12                                       // 000000007DFC: BF048C4A
	s_cbranch_scc0 label_1005                                  // 000000007E00: BF840075
	s_mov_b32 s60, 0xffe0fffe                                  // 000000007E04: BEBC00FF FFE0FFFE
	s_mov_b32 s61, 0xe000fe00                                  // 000000007E0C: BEBD00FF E000FE00
	s_nop 0                                                    // 000000007E14: BF800000
	s_add_u32 s62, 0, s46                                      // 000000007E18: 803E2E80
	s_cmp_lt_i32 s74, s62                                      // 000000007E1C: BF043E4A
	s_cbranch_scc1 label_0FC0                                  // 000000007E20: BF850028
	s_cmp_eq_i32 s74, s62                                      // 000000007E24: BF003E4A
	s_cbranch_scc1 label_0FA5                                  // 000000007E28: BF85000B
	s_add_u32 s62, 4, s46                                      // 000000007E2C: 803E2E84
	s_cmp_lt_i32 s74, s62                                      // 000000007E30: BF043E4A
	s_cbranch_scc1 label_0FE0                                  // 000000007E34: BF850043
	s_cmp_eq_i32 s74, s62                                      // 000000007E38: BF003E4A
	s_cbranch_scc1 label_0FC5                                  // 000000007E3C: BF850026
	s_add_u32 s62, 8, s46                                      // 000000007E40: 803E2E88
	s_cmp_lt_i32 s74, s62                                      // 000000007E44: BF043E4A
	s_cbranch_scc1 label_1000                                  // 000000007E48: BF85005E
	s_cmp_eq_i32 s74, s62                                      // 000000007E4C: BF003E4A
	s_cbranch_scc1 label_0FE5                                  // 000000007E50: BF850041
	s_branch label_1005                                        // 000000007E54: BF820060

0000000000007e58 <label_0FA5>:
	v_cndmask_b32_e64 v36, v36, v127, s[60:61]                 // 000000007E58: D1000024 00F2FF24
	s_lshl_b32 s60, s60, 1                                     // 000000007E60: 8E3C813C
	s_lshl_b32 s61, s61, 1                                     // 000000007E64: 8E3D813D
	s_and_b32 s60, 0xfffeffff, s60                             // 000000007E68: 863C3CFF FFFEFFFF
	s_and_b32 s61, 0xfffeffff, s61                             // 000000007E70: 863D3DFF FFFEFFFF
	v_cndmask_b32_e64 v37, v37, v127, s[60:61]                 // 000000007E78: D1000025 00F2FF25
	s_lshl_b32 s60, s60, 1                                     // 000000007E80: 8E3C813C
	s_lshl_b32 s61, s61, 1                                     // 000000007E84: 8E3D813D
	s_and_b32 s60, 0xfffeffff, s60                             // 000000007E88: 863C3CFF FFFEFFFF
	s_and_b32 s61, 0xfffeffff, s61                             // 000000007E90: 863D3DFF FFFEFFFF
	v_cndmask_b32_e64 v38, v38, v127, s[60:61]                 // 000000007E98: D1000026 00F2FF26
	s_lshl_b32 s60, s60, 1                                     // 000000007EA0: 8E3C813C
	s_lshl_b32 s61, s61, 1                                     // 000000007EA4: 8E3D813D
	s_and_b32 s60, 0xfffeffff, s60                             // 000000007EA8: 863C3CFF FFFEFFFF
	s_and_b32 s61, 0xfffeffff, s61                             // 000000007EB0: 863D3DFF FFFEFFFF
	v_cndmask_b32_e64 v39, v39, v127, s[60:61]                 // 000000007EB8: D1000027 00F2FF27
	s_branch label_0FE0                                        // 000000007EC0: BF820020

0000000000007ec4 <label_0FC0>:
	v_mov_b32_e32 v36, v127                                    // 000000007EC4: 7E48037F
	v_mov_b32_e32 v37, v127                                    // 000000007EC8: 7E4A037F
	v_mov_b32_e32 v38, v127                                    // 000000007ECC: 7E4C037F
	v_mov_b32_e32 v39, v127                                    // 000000007ED0: 7E4E037F
	s_branch label_0FE0                                        // 000000007ED4: BF82001B

0000000000007ed8 <label_0FC5>:
	v_cndmask_b32_e64 v40, v40, v127, s[60:61]                 // 000000007ED8: D1000028 00F2FF28
	s_lshl_b32 s60, s60, 1                                     // 000000007EE0: 8E3C813C
	s_lshl_b32 s61, s61, 1                                     // 000000007EE4: 8E3D813D
	s_and_b32 s60, 0xfffeffff, s60                             // 000000007EE8: 863C3CFF FFFEFFFF
	s_and_b32 s61, 0xfffeffff, s61                             // 000000007EF0: 863D3DFF FFFEFFFF
	v_cndmask_b32_e64 v41, v41, v127, s[60:61]                 // 000000007EF8: D1000029 00F2FF29
	s_lshl_b32 s60, s60, 1                                     // 000000007F00: 8E3C813C
	s_lshl_b32 s61, s61, 1                                     // 000000007F04: 8E3D813D
	s_and_b32 s60, 0xfffeffff, s60                             // 000000007F08: 863C3CFF FFFEFFFF
	s_and_b32 s61, 0xfffeffff, s61                             // 000000007F10: 863D3DFF FFFEFFFF
	v_cndmask_b32_e64 v42, v42, v127, s[60:61]                 // 000000007F18: D100002A 00F2FF2A
	s_lshl_b32 s60, s60, 1                                     // 000000007F20: 8E3C813C
	s_lshl_b32 s61, s61, 1                                     // 000000007F24: 8E3D813D
	s_and_b32 s60, 0xfffeffff, s60                             // 000000007F28: 863C3CFF FFFEFFFF
	s_and_b32 s61, 0xfffeffff, s61                             // 000000007F30: 863D3DFF FFFEFFFF
	v_cndmask_b32_e64 v43, v43, v127, s[60:61]                 // 000000007F38: D100002B 00F2FF2B
	s_branch label_1000                                        // 000000007F40: BF820020

0000000000007f44 <label_0FE0>:
	v_mov_b32_e32 v40, v127                                    // 000000007F44: 7E50037F
	v_mov_b32_e32 v41, v127                                    // 000000007F48: 7E52037F
	v_mov_b32_e32 v42, v127                                    // 000000007F4C: 7E54037F
	v_mov_b32_e32 v43, v127                                    // 000000007F50: 7E56037F
	s_branch label_1000                                        // 000000007F54: BF82001B

0000000000007f58 <label_0FE5>:
	v_cndmask_b32_e64 v44, v44, v127, s[60:61]                 // 000000007F58: D100002C 00F2FF2C
	s_lshl_b32 s60, s60, 1                                     // 000000007F60: 8E3C813C
	s_lshl_b32 s61, s61, 1                                     // 000000007F64: 8E3D813D
	s_and_b32 s60, 0xfffeffff, s60                             // 000000007F68: 863C3CFF FFFEFFFF
	s_and_b32 s61, 0xfffeffff, s61                             // 000000007F70: 863D3DFF FFFEFFFF
	v_cndmask_b32_e64 v45, v45, v127, s[60:61]                 // 000000007F78: D100002D 00F2FF2D
	s_lshl_b32 s60, s60, 1                                     // 000000007F80: 8E3C813C
	s_lshl_b32 s61, s61, 1                                     // 000000007F84: 8E3D813D
	s_and_b32 s60, 0xfffeffff, s60                             // 000000007F88: 863C3CFF FFFEFFFF
	s_and_b32 s61, 0xfffeffff, s61                             // 000000007F90: 863D3DFF FFFEFFFF
	v_cndmask_b32_e64 v46, v46, v127, s[60:61]                 // 000000007F98: D100002E 00F2FF2E
	s_lshl_b32 s60, s60, 1                                     // 000000007FA0: 8E3C813C
	s_lshl_b32 s61, s61, 1                                     // 000000007FA4: 8E3D813D
	s_and_b32 s60, 0xfffeffff, s60                             // 000000007FA8: 863C3CFF FFFEFFFF
	s_and_b32 s61, 0xfffeffff, s61                             // 000000007FB0: 863D3DFF FFFEFFFF
	v_cndmask_b32_e64 v47, v47, v127, s[60:61]                 // 000000007FB8: D100002F 00F2FF2F
	s_branch label_1005                                        // 000000007FC0: BF820005

0000000000007fc4 <label_1000>:
	v_mov_b32_e32 v44, v127                                    // 000000007FC4: 7E58037F
	v_mov_b32_e32 v45, v127                                    // 000000007FC8: 7E5A037F
	v_mov_b32_e32 v46, v127                                    // 000000007FCC: 7E5C037F
	v_mov_b32_e32 v47, v127                                    // 000000007FD0: 7E5E037F
	s_branch label_1005                                        // 000000007FD4: BF820000

0000000000007fd8 <label_1005>:
	s_cmp_lt_i32 s64, 0xc0                                     // 000000007FD8: BF04FF40 000000C0
	s_cbranch_scc0 label_105A                                  // 000000007FE0: BF84004D
	s_cmp_le_i32 s64, 64                                       // 000000007FE4: BF05C040
	s_cbranch_scc1 label_1011                                  // 000000007FE8: BF850007
	s_cmp_le_i32 s64, 0x80                                     // 000000007FEC: BF05FF40 00000080
	s_cbranch_scc1 label_1029                                  // 000000007FF4: BF850017
	s_cmp_lt_i32 s64, 0xc0                                     // 000000007FF8: BF04FF40 000000C0
	s_cbranch_scc1 label_1041                                  // 000000008000: BF85002C
	s_branch label_105A                                        // 000000008004: BF820044

0000000000008008 <label_1011>:
	s_mov_b32 s60, 0                                           // 000000008008: BEBC0080
	v_and_b32_e32 v32, 15, v0                                  // 00000000800C: 2640008F
	v_add_u32_e64 v32, v32, s60                                // 000000008010: D1340020 00007920
	v_mul_i32_i24_e64 v33, s46, 16                             // 000000008018: D1060021 0001202E
	v_add_u32_e32 v32, v32, v33                                // 000000008020: 68404320
	v_cmp_lt_u32_e64 s[60:61], v32, s64                        // 000000008024: D0C9003C 00008120
	s_nop 1                                                    // 00000000802C: BF800001
	v_cndmask_b32_e64 v36, v127, v36, s[60:61]                 // 000000008030: D1000024 00F2497F
	v_cndmask_b32_e64 v37, v127, v37, s[60:61]                 // 000000008038: D1000025 00F24B7F
	v_cndmask_b32_e64 v38, v127, v38, s[60:61]                 // 000000008040: D1000026 00F24D7F
	v_cndmask_b32_e64 v39, v127, v39, s[60:61]                 // 000000008048: D1000027 00F24F7F
	s_branch label_103C                                        // 000000008050: BF820013

0000000000008054 <label_1029>:
	s_mov_b32 s60, 64                                          // 000000008054: BEBC00C0
	v_and_b32_e32 v32, 15, v0                                  // 000000008058: 2640008F
	v_add_u32_e64 v32, v32, s60                                // 00000000805C: D1340020 00007920
	v_mul_i32_i24_e64 v33, s46, 16                             // 000000008064: D1060021 0001202E
	v_add_u32_e32 v32, v32, v33                                // 00000000806C: 68404320
	v_cmp_lt_u32_e64 s[60:61], v32, s64                        // 000000008070: D0C9003C 00008120
	s_nop 1                                                    // 000000008078: BF800001
	v_cndmask_b32_e64 v40, v127, v40, s[60:61]                 // 00000000807C: D1000028 00F2517F
	v_cndmask_b32_e64 v41, v127, v41, s[60:61]                 // 000000008084: D1000029 00F2537F
	v_cndmask_b32_e64 v42, v127, v42, s[60:61]                 // 00000000808C: D100002A 00F2557F
	v_cndmask_b32_e64 v43, v127, v43, s[60:61]                 // 000000008094: D100002B 00F2577F
	s_branch label_1055                                        // 00000000809C: BF820019

00000000000080a0 <label_103C>:
	v_mov_b32_e32 v40, v127                                    // 0000000080A0: 7E50037F
	v_mov_b32_e32 v41, v127                                    // 0000000080A4: 7E52037F
	v_mov_b32_e32 v42, v127                                    // 0000000080A8: 7E54037F
	v_mov_b32_e32 v43, v127                                    // 0000000080AC: 7E56037F
	s_branch label_1055                                        // 0000000080B0: BF820014

00000000000080b4 <label_1041>:
	s_mov_b32 s60, 0x80                                        // 0000000080B4: BEBC00FF 00000080
	v_and_b32_e32 v32, 15, v0                                  // 0000000080BC: 2640008F
	v_add_u32_e64 v32, v32, s60                                // 0000000080C0: D1340020 00007920
	v_mul_i32_i24_e64 v33, s46, 16                             // 0000000080C8: D1060021 0001202E
	v_add_u32_e32 v32, v32, v33                                // 0000000080D0: 68404320
	v_cmp_lt_u32_e64 s[60:61], v32, s64                        // 0000000080D4: D0C9003C 00008120
	s_nop 1                                                    // 0000000080DC: BF800001
	v_cndmask_b32_e64 v44, v127, v44, s[60:61]                 // 0000000080E0: D100002C 00F2597F
	v_cndmask_b32_e64 v45, v127, v45, s[60:61]                 // 0000000080E8: D100002D 00F25B7F
	v_cndmask_b32_e64 v46, v127, v46, s[60:61]                 // 0000000080F0: D100002E 00F25D7F
	v_cndmask_b32_e64 v47, v127, v47, s[60:61]                 // 0000000080F8: D100002F 00F25F7F
	s_branch label_105A                                        // 000000008100: BF820005

0000000000008104 <label_1055>:
	v_mov_b32_e32 v44, v127                                    // 000000008104: 7E58037F
	v_mov_b32_e32 v45, v127                                    // 000000008108: 7E5A037F
	v_mov_b32_e32 v46, v127                                    // 00000000810C: 7E5C037F
	v_mov_b32_e32 v47, v127                                    // 000000008110: 7E5E037F
	s_branch label_105A                                        // 000000008114: BF820000

0000000000008118 <label_105A>:
	s_addk_i32 s74, 0x1                                        // 000000008118: B74A0001
	s_waitcnt lgkmcnt(8)                                       // 00000000811C: BF8CC87F
	v_mfma_f32_16x16x32_bf16 v[60:63], v[72:75], a[64:67], 0   // 000000008120: D3B5003C 12028148
	v_exp_f32_e32 v36, v36                                     // 000000008128: 7E484124
	v_exp_f32_e32 v37, v37                                     // 00000000812C: 7E4A4125
	v_mfma_f32_16x16x32_bf16 v[60:63], v[76:79], a[68:71], v[60:63]// 000000008130: D3B5003C 14F2894C
	v_exp_f32_e32 v38, v38                                     // 000000008138: 7E4C4126
	v_exp_f32_e32 v39, v39                                     // 00000000813C: 7E4E4127
	v_mfma_f32_16x16x32_bf16 v[60:63], v[80:83], a[72:75], v[60:63]// 000000008140: D3B5003C 14F29150
	v_fma_f32 v44, v44, s57, -v104                             // 000000008148: D1CB002C 85A0732C
	v_fma_f32 v45, v45, s57, -v105                             // 000000008150: D1CB002D 85A4732D
	v_exp_f32_e32 v40, v40                                     // 000000008158: 7E504128
	v_exp_f32_e32 v41, v41                                     // 00000000815C: 7E524129
	buffer_atomic_add_f32 v110, v9, s[32:35], 0 offen          // 000000008160: E1341000 80086E09
	v_mfma_f32_16x16x32_bf16 v[60:63], v[84:87], a[76:79], v[60:63]// 000000008168: D3B5003C 14F29954
	ds_read_b64_tr_b16 v[224:225], v13                         // 000000008170: D9C60000 E000000D
	ds_read_b64_tr_b16 v[226:227], v13 offset:256              // 000000008178: D9C60100 E200000D
	ds_read_b64_tr_b16 v[228:229], v13 offset:1024             // 000000008180: D9C60400 E400000D
	ds_read_b64_tr_b16 v[230:231], v13 offset:1280             // 000000008188: D9C60500 E600000D
	v_mfma_f32_16x16x32_bf16 v[64:67], v[72:75], a[80:83], 0   // 000000008190: D3B50040 1202A148
	v_fma_f32 v46, v46, s57, -v106                             // 000000008198: D1CB002E 85A8732E
	v_fma_f32 v47, v47, s57, -v107                             // 0000000081A0: D1CB002F 85AC732F
	v_exp_f32_e32 v42, v42                                     // 0000000081A8: 7E54412A
	v_exp_f32_e32 v43, v43                                     // 0000000081AC: 7E56412B
	v_mfma_f32_16x16x32_bf16 v[64:67], v[76:79], a[84:87], v[64:67]// 0000000081B0: D3B50040 1502A94C
	ds_read_b64_tr_b16 v[232:233], v13 offset:2048             // 0000000081B8: D9C60800 E800000D
	ds_read_b64_tr_b16 v[234:235], v13 offset:2304             // 0000000081C0: D9C60900 EA00000D
	ds_read_b64_tr_b16 v[236:237], v13 offset:3072             // 0000000081C8: D9C60C00 EC00000D
	ds_read_b64_tr_b16 v[238:239], v13 offset:3328             // 0000000081D0: D9C60D00 EE00000D
	v_mfma_f32_16x16x32_bf16 v[64:67], v[80:83], a[88:91], v[64:67]// 0000000081D8: D3B50040 1502B150
	v_exp_f32_e32 v44, v44                                     // 0000000081E0: 7E58412C
	v_exp_f32_e32 v45, v45                                     // 0000000081E4: 7E5A412D
	v_mfma_f32_16x16x32_bf16 v[64:67], v[84:87], a[92:95], v[64:67]// 0000000081E8: D3B50040 1502B954
	v_cvt_pk_bf16_f32 v120, v36, v37                           // 0000000081F0: D2680078 00024B24
	v_cvt_pk_bf16_f32 v121, v38, v39                           // 0000000081F8: D2680079 00024F26
	v_cvt_pk_bf16_f32 v122, v40, v41                           // 000000008200: D268007A 00025328
	v_cvt_pk_bf16_f32 v123, v42, v43                           // 000000008208: D268007B 0002572A
	v_mfma_f32_16x16x32_bf16 v[68:71], v[72:75], a[96:99], 0   // 000000008210: D3B50044 1202C148
	v_exp_f32_e32 v46, v46                                     // 000000008218: 7E5C412E
	v_exp_f32_e32 v47, v47                                     // 00000000821C: 7E5E412F
	v_mfma_f32_16x16x32_bf16 v[68:71], v[76:79], a[100:103], v[68:71]// 000000008220: D3B50044 1512C94C
	v_permlane16_swap_b32_e32 v120, v122                       // 000000008228: 7EF0B37A
	v_permlane16_swap_b32_e32 v121, v123                       // 00000000822C: 7EF2B37B
	v_mfma_f32_16x16x32_bf16 v[68:71], v[80:83], a[104:107], v[68:71]// 000000008230: D3B50044 1512D150
	v_cvt_pk_bf16_f32 v124, v44, v45                           // 000000008238: D268007C 00025B2C
	v_cvt_pk_bf16_f32 v125, v46, v47                           // 000000008240: D268007D 00025F2E
	buffer_atomic_add_f32 v111, v10, s[32:35], 0 offen         // 000000008248: E1341000 80086F0A
	v_mfma_f32_16x16x32_bf16 v[68:71], v[84:87], a[108:111], v[68:71]// 000000008250: D3B50044 1512D954
	ds_read_b64_tr_b16 v[240:241], v13 offset:4096             // 000000008258: D9C61000 F000000D
	ds_read_b64_tr_b16 v[242:243], v13 offset:4352             // 000000008260: D9C61100 F200000D
	ds_read_b64_tr_b16 v[244:245], v13 offset:5120             // 000000008268: D9C61400 F400000D
	ds_read_b64_tr_b16 v[246:247], v13 offset:5376             // 000000008270: D9C61500 F600000D
	s_waitcnt lgkmcnt(12)                                      // 000000008278: BF8CCC7F
	v_mfma_f32_32x32x16_bf16 v[128:143], v[88:91], v[120:123], v[128:143]// 00000000827C: D3B70080 0602F158
	v_subrev_f32_dpp v60, v126, v60 quad_perm:[0,0,0,0] row_mask:0xf bank_mask:0xf// 000000008284: 067878FA FF00007E
	v_subrev_f32_dpp v61, v126, v61 quad_perm:[1,1,1,1] row_mask:0xf bank_mask:0xf// 00000000828C: 067A7AFA FF00557E
	v_subrev_f32_dpp v62, v126, v62 quad_perm:[2,2,2,2] row_mask:0xf bank_mask:0xf// 000000008294: 067C7CFA FF00AA7E
	v_subrev_f32_dpp v63, v126, v63 quad_perm:[3,3,3,3] row_mask:0xf bank_mask:0xf// 00000000829C: 067E7EFA FF00FF7E
	v_subrev_f32_dpp v64, v126, v64 quad_perm:[0,0,0,0] row_mask:0xf bank_mask:0xf// 0000000082A4: 068080FA FF00007E
	v_subrev_f32_dpp v65, v126, v65 quad_perm:[1,1,1,1] row_mask:0xf bank_mask:0xf// 0000000082AC: 068282FA FF00557E
	v_subrev_f32_dpp v66, v126, v66 quad_perm:[2,2,2,2] row_mask:0xf bank_mask:0xf// 0000000082B4: 068484FA FF00AA7E
	v_subrev_f32_dpp v67, v126, v67 quad_perm:[3,3,3,3] row_mask:0xf bank_mask:0xf// 0000000082BC: 068686FA FF00FF7E
	v_mul_f32_e32 v60, v36, v60                                // 0000000082C4: 0A787924
	v_mul_f32_e32 v61, v37, v61                                // 0000000082C8: 0A7A7B25
	v_mul_f32_e32 v62, v38, v62                                // 0000000082CC: 0A7C7D26
	v_mul_f32_e32 v63, v39, v63                                // 0000000082D0: 0A7E7F27
	v_mfma_f32_32x32x16_bf16 v[144:159], v[92:95], v[120:123], v[144:159]// 0000000082D4: D3B70090 0642F15C
	ds_read_b64_tr_b16 a[0:1], v19                             // 0000000082DC: DBC60000 00000013
	ds_read_b64_tr_b16 a[2:3], v19 offset:256                  // 0000000082E4: DBC60100 02000013
	ds_read_b64_tr_b16 a[4:5], v19 offset:12288                // 0000000082EC: DBC63000 04000013
	ds_read_b64_tr_b16 a[6:7], v19 offset:12544                // 0000000082F4: DBC63100 06000013
	ds_read_b64_tr_b16 a[8:9], v19 offset:24576                // 0000000082FC: DBC66000 08000013
	buffer_atomic_add_f32 v112, v7, s[32:35], 0 offen offset:64// 000000008304: E1341040 80087007
	v_mfma_f32_32x32x16_bf16 v[160:175], v[96:99], v[120:123], v[160:175]// 00000000830C: D3B700A0 0682F160
	v_mul_f32_e32 v64, v40, v64                                // 000000008314: 0A808128
	v_mul_f32_e32 v65, v41, v65                                // 000000008318: 0A828329
	v_mul_f32_e32 v66, v42, v66                                // 00000000831C: 0A84852A
	v_mul_f32_e32 v67, v43, v67                                // 000000008320: 0A86872B
	v_permlane16_swap_b32_e32 v88, v90                         // 000000008324: 7EB0B35A
	v_permlane16_swap_b32_e32 v89, v91                         // 000000008328: 7EB2B35B
	v_cvt_pk_bf16_f32 v60, v60, v61                            // 00000000832C: D268003C 00027B3C
	v_cvt_pk_bf16_f32 v61, v62, v63                            // 000000008334: D268003D 00027F3E
	v_cvt_pk_bf16_f32 v62, v64, v65                            // 00000000833C: D268003E 00028340
	v_cvt_pk_bf16_f32 v63, v66, v67                            // 000000008344: D268003F 00028742
	v_permlane16_swap_b32_e32 v92, v94                         // 00000000834C: 7EB8B35E
	v_permlane16_swap_b32_e32 v93, v95                         // 000000008350: 7EBAB35F
	v_mfma_f32_32x32x16_bf16 v[176:191], v[100:103], v[120:123], v[176:191]// 000000008354: D3B700B0 06C2F164
	ds_read_b64_tr_b16 a[10:11], v19 offset:24832              // 00000000835C: DBC66100 0A000013
	ds_read_b64_tr_b16 a[12:13], v19 offset:36864              // 000000008364: DBC69000 0C000013
	ds_read_b64_tr_b16 a[14:15], v19 offset:37120              // 00000000836C: DBC69100 0E000013
	ds_read_b64_tr_b16 a[16:17], v19 offset:49152              // 000000008374: DBC6C000 10000013
	ds_read_b64_tr_b16 a[18:19], v19 offset:49408              // 00000000837C: DBC6C100 12000013
	ds_read_b32 v104, v16 offset:38144                         // 000000008384: D86C9500 68000010
	v_mfma_f32_16x16x16_bf16 v[192:195], v[88:89], v[124:125], v[192:195]// 00000000838C: D3E100C0 0702F958
	v_permlane16_swap_b32_e32 v96, v98                         // 000000008394: 7EC0B362
	v_permlane16_swap_b32_e32 v97, v99                         // 000000008398: 7EC2B363
	v_subrev_f32_dpp v68, v126, v68 quad_perm:[0,0,0,0] row_mask:0xf bank_mask:0xf// 00000000839C: 068888FA FF00007E
	v_subrev_f32_dpp v69, v126, v69 quad_perm:[1,1,1,1] row_mask:0xf bank_mask:0xf// 0000000083A4: 068A8AFA FF00557E
	v_mfma_f32_16x16x16_bf16 v[196:199], v[90:91], v[124:125], v[196:199]// 0000000083AC: D3E100C4 0712F95A
	buffer_atomic_add_f32 v113, v8, s[32:35], 0 offen offset:64// 0000000083B4: E1341040 80087108
	ds_write_b64 v15, v[60:61] offset:30720                    // 0000000083BC: D89A7800 00003C0F
	ds_write_b64 v15, v[62:63] offset:33024                    // 0000000083C4: D89A8100 00003E0F
	v_mfma_f32_16x16x16_bf16 v[200:203], v[92:93], v[124:125], v[200:203]// 0000000083CC: D3E100C8 0722F95C
	v_permlane16_swap_b32_e32 v100, v102                       // 0000000083D4: 7EC8B366
	v_permlane16_swap_b32_e32 v101, v103                       // 0000000083D8: 7ECAB367
	v_subrev_f32_dpp v70, v126, v70 quad_perm:[2,2,2,2] row_mask:0xf bank_mask:0xf// 0000000083DC: 068C8CFA FF00AA7E
	v_subrev_f32_dpp v71, v126, v71 quad_perm:[3,3,3,3] row_mask:0xf bank_mask:0xf// 0000000083E4: 068E8EFA FF00FF7E
	v_mfma_f32_16x16x16_bf16 v[204:207], v[94:95], v[124:125], v[204:207]// 0000000083EC: D3E100CC 0732F95E
	v_permlane16_swap_b32_e32 v60, v62                         // 0000000083F4: 7E78B33E
	v_permlane16_swap_b32_e32 v61, v63                         // 0000000083F8: 7E7AB33F
	v_mfma_f32_16x16x16_bf16 v[208:211], v[96:97], v[124:125], v[208:211]// 0000000083FC: D3E100D0 0742F960
	v_mul_f32_e32 v68, v44, v68                                // 000000008404: 0A88892C
	v_mul_f32_e32 v69, v45, v69                                // 000000008408: 0A8A8B2D
	v_mul_f32_e32 v70, v46, v70                                // 00000000840C: 0A8C8D2E
	v_mfma_f32_16x16x16_bf16 v[212:215], v[98:99], v[124:125], v[212:215]// 000000008410: D3E100D4 0752F962
	ds_read_b64_tr_b16 a[20:21], v19 offset:61440              // 000000008418: DBC6F000 14000013
	ds_read_b64_tr_b16 a[22:23], v19 offset:61696              // 000000008420: DBC6F100 16000013
	ds_read_b64_tr_b16 a[24:25], v20                           // 000000008428: DBC60000 18000014
	v_mfma_f32_16x16x16_bf16 v[216:219], v[100:101], v[124:125], v[216:219]// 000000008430: D3E100D8 0762F964
	v_mul_f32_e32 v71, v47, v71                                // 000000008438: 0A8E8F2F
	v_cvt_pk_bf16_f32 v64, v68, v69                            // 00000000843C: D2680040 00028B44
	v_cvt_pk_bf16_f32 v65, v70, v71                            // 000000008444: D2680041 00028F46
	v_mfma_f32_16x16x16_bf16 v[220:223], v[102:103], v[124:125], v[220:223]// 00000000844C: D3E100DC 0772F966
	ds_read_b32 v126, v16 offset:38400                         // 000000008454: D86C9600 7E000010
	ds_read_b64_tr_b16 a[26:27], v20 offset:256                // 00000000845C: DBC60100 1A000014
	ds_read_b64_tr_b16 a[28:29], v20 offset:12288              // 000000008464: DBC63000 1C000014
	s_waitcnt lgkmcnt(8)                                       // 00000000846C: BF8CC87F
	v_mfma_f32_32x32x16_bf16 a[112:127], v[224:227], v[60:63], a[112:127]// 000000008470: D3B78070 05C279E0
	v_mul_f32_e32 v104, s48, v104                              // 000000008478: 0AD0D030
	buffer_atomic_add_f32 v114, v9, s[32:35], 0 offen offset:64// 00000000847C: E1341040 80087209
	v_mfma_f32_32x32x16_bf16 a[128:143], v[228:231], v[60:63], a[128:143]// 000000008484: D3B78080 060279E4
	ds_read_b64_tr_b16 a[30:31], v20 offset:12544              // 00000000848C: DBC63100 1E000014
	ds_write_b64 v15, v[64:65] offset:35328                    // 000000008494: D89A8A00 0000400F
	ds_read_b64_tr_b16 a[32:33], v20 offset:24576              // 00000000849C: DBC66000 20000014
	ds_read_b64_tr_b16 a[34:35], v20 offset:24832              // 0000000084A4: DBC66100 22000014
	v_mfma_f32_32x32x16_bf16 a[144:159], v[232:235], v[60:63], a[144:159]// 0000000084AC: D3B78090 064279E8
	.long 0x7fc0b3e2                                           // 0000000084B4: 7FC0B3E2
	.long 0x7fc2b3e3                                           // 0000000084B8: 7FC2B3E3
	buffer_atomic_add_f32 v115, v10, s[32:35], 0 offen offset:64// 0000000084BC: E1341040 8008730A
	v_mfma_f32_32x32x16_bf16 a[160:175], v[236:239], v[60:63], a[160:175]// 0000000084C4: D3B780A0 068279EC
	ds_read_b64_tr_b16 a[36:37], v20 offset:36864              // 0000000084CC: DBC69000 24000014
	ds_read_b64_tr_b16 a[38:39], v20 offset:37120              // 0000000084D4: DBC69100 26000014
	ds_read_b64_tr_b16 a[40:41], v20 offset:49152              // 0000000084DC: DBC6C000 28000014
	ds_read_b64_tr_b16 a[42:43], v20 offset:49408              // 0000000084E4: DBC6C100 2A000014
	ds_read_b64_tr_b16 a[44:45], v20 offset:61440              // 0000000084EC: DBC6F000 2C000014
	ds_read_b64_tr_b16 a[46:47], v20 offset:61696              // 0000000084F4: DBC6F100 2E000014
	s_waitcnt lgkmcnt(8)                                       // 0000000084FC: BF8CC87F
	s_barrier                                                  // 000000008500: BF8A0000
	v_mfma_f32_32x32x16_bf16 a[176:191], v[240:243], v[60:63], a[176:191]// 000000008504: D3B780B0 06C279F0
	.long 0x7fc8b3e6                                           // 00000000850C: 7FC8B3E6
	.long 0x7fcab3e7                                           // 000000008510: 7FCAB3E7
	v_mov_b32_dpp v107, v104 quad_perm:[3,3,3,3] row_mask:0xf bank_mask:0xf// 000000008514: 7ED602FA FF00FF68
	v_mov_b32_dpp v106, v104 quad_perm:[2,2,2,2] row_mask:0xf bank_mask:0xf// 00000000851C: 7ED402FA FF00AA68
	buffer_atomic_add_f32 v116, v7, s[32:35], 0 offen offset:128// 000000008524: E1341080 80087407
	v_mfma_f32_32x32x16_bf16 a[192:207], v[244:247], v[60:63], a[192:207]// 00000000852C: D3B780C0 070279F4
	ds_read_b64_tr_b16 v[36:37], v14 offset:30720              // 000000008534: D9C67800 2400000E
	ds_read_b64_tr_b16 v[38:39], v14 offset:30752              // 00000000853C: D9C67820 2600000E
	ds_read_b64_tr_b16 v[40:41], v14 offset:31872              // 000000008544: D9C67C80 2800000E
	ds_read_b64_tr_b16 v[42:43], v14 offset:31904              // 00000000854C: D9C67CA0 2A00000E
	ds_read_b64_tr_b16 v[44:45], v14 offset:33024              // 000000008554: D9C68100 2C00000E
	ds_read_b64_tr_b16 v[46:47], v14 offset:33056              // 00000000855C: D9C68120 2E00000E
	v_mfma_f32_16x16x16_bf16 a[208:211], v[224:225], v[64:65], a[208:211]// 000000008564: D3E180D0 074281E0
	.long 0x7fd0b3ea                                           // 00000000856C: 7FD0B3EA
	.long 0x7fd2b3eb                                           // 000000008570: 7FD2B3EB
	v_mfma_f32_16x16x16_bf16 a[212:215], v[226:227], v[64:65], a[212:215]// 000000008574: D3E180D4 075281E2
	ds_read_b64_tr_b16 v[48:49], v14 offset:34176              // 00000000857C: D9C68580 3000000E
	ds_read_b64_tr_b16 v[50:51], v14 offset:34208              // 000000008584: D9C685A0 3200000E
	ds_read_b64_tr_b16 v[52:53], v14 offset:35328              // 00000000858C: D9C68A00 3400000E
	v_mfma_f32_16x16x16_bf16 a[216:219], v[228:229], v[64:65], a[216:219]// 000000008594: D3E180D8 076281E4
	v_permlane16_swap_b32_e32 v236, v238                       // 00000000859C: 7FD8B3EE
	v_permlane16_swap_b32_e32 v237, v239                       // 0000000085A0: 7FDAB3EF
	buffer_atomic_add_f32 v117, v8, s[32:35], 0 offen offset:128// 0000000085A4: E1341080 80087508
	v_mfma_f32_16x16x16_bf16 a[220:223], v[230:231], v[64:65], a[220:223]// 0000000085AC: D3E180DC 077281E6
	ds_read_b64_tr_b16 v[54:55], v14 offset:35360              // 0000000085B4: D9C68A20 3600000E
	ds_read_b64_tr_b16 v[56:57], v14 offset:36480              // 0000000085BC: D9C68E80 3800000E
	ds_read_b64_tr_b16 v[58:59], v14 offset:36512              // 0000000085C4: D9C68EA0 3A00000E
	v_mfma_f32_16x16x16_bf16 a[224:227], v[232:233], v[64:65], a[224:227]// 0000000085CC: D3E180E0 078281E8
	v_permlane16_swap_b32_e32 v240, v242                       // 0000000085D4: 7FE0B3F2
	v_permlane16_swap_b32_e32 v241, v243                       // 0000000085D8: 7FE2B3F3
	v_mfma_f32_16x16x16_bf16 a[228:231], v[234:235], v[64:65], a[228:231]// 0000000085DC: D3E180E4 079281EA
	ds_read_b64_tr_b16 a[48:49], v21                           // 0000000085E4: DBC60000 30000015
	ds_read_b64_tr_b16 a[50:51], v21 offset:256                // 0000000085EC: DBC60100 32000015
	ds_read_b64_tr_b16 a[52:53], v21 offset:12288              // 0000000085F4: DBC63000 34000015
	v_mfma_f32_16x16x16_bf16 a[232:235], v[236:237], v[64:65], a[232:235]// 0000000085FC: D3E180E8 07A281EC
	v_permlane16_swap_b32_e32 v244, v246                       // 000000008604: 7FE8B3F6
	v_permlane16_swap_b32_e32 v245, v247                       // 000000008608: 7FEAB3F7
	v_mfma_f32_16x16x16_bf16 a[236:239], v[238:239], v[64:65], a[236:239]// 00000000860C: D3E180EC 07B281EE
	ds_read_b64_tr_b16 a[54:55], v21 offset:12544              // 000000008614: DBC63100 36000015
	ds_read_b64_tr_b16 a[56:57], v21 offset:24576              // 00000000861C: DBC66000 38000015
	ds_read_b64_tr_b16 a[58:59], v21 offset:24832              // 000000008624: DBC66100 3A000015
	v_mfma_f32_16x16x16_bf16 a[240:243], v[240:241], v[64:65], a[240:243]// 00000000862C: D3E180F0 07C281F0
	v_mov_b32_dpp v105, v104 quad_perm:[1,1,1,1] row_mask:0xf bank_mask:0xf// 000000008634: 7ED202FA FF005568
	buffer_atomic_add_f32 v118, v9, s[32:35], 0 offen offset:128// 00000000863C: E1341080 80087609
	v_mfma_f32_16x16x16_bf16 a[244:247], v[242:243], v[64:65], a[244:247]// 000000008644: D3E180F4 07D281F2
	ds_read_b64_tr_b16 a[60:61], v21 offset:36864              // 00000000864C: DBC69000 3C000015
	ds_read_b64_tr_b16 a[62:63], v21 offset:37120              // 000000008654: DBC69100 3E000015
	ds_read_b64_tr_b16 v[248:249], v21 offset:49152            // 00000000865C: D9C6C000 F8000015
	v_mfma_f32_16x16x16_bf16 a[248:251], v[244:245], v[64:65], a[248:251]// 000000008664: D3E180F8 07E281F4
	v_mov_b32_dpp v104, v104 quad_perm:[0,0,0,0] row_mask:0xf bank_mask:0xf// 00000000866C: 7ED002FA FF000068
	buffer_atomic_add_f32 v119, v10, s[32:35], 0 offen offset:128// 000000008674: E1341080 8008770A
	v_mfma_f32_16x16x16_bf16 a[252:255], v[246:247], v[64:65], a[252:255]// 00000000867C: D3E180FC 07F281F6
	ds_read_b64_tr_b16 v[250:251], v21 offset:49408            // 000000008684: D9C6C100 FA000015
	ds_read_b64_tr_b16 v[252:253], v21 offset:61440            // 00000000868C: D9C6F000 FC000015
	ds_read_b64_tr_b16 v[254:255], v21 offset:61696            // 000000008694: D9C6F100 FE000015
	s_waitcnt vmcnt(12) lgkmcnt(6)                             // 00000000869C: BF8C067C
	s_barrier                                                  // 0000000086A0: BF8A0000
	v_mfma_f32_16x16x32_bf16 v[108:111], v[36:39], a[0:3], 0   // 0000000086A4: D3B5006C 12020124
	s_mov_b32 m0, s81                                          // 0000000086AC: BEFC0051
	buffer_load_dwordx4 v1, s[8:11], 0 idxen lds               // 0000000086B0: E05D2000 80020001
	v_mfma_f32_16x16x32_bf16 v[108:111], v[40:43], a[4:7], v[108:111]// 0000000086B8: D3B5006C 15B20928
	ds_read_b128 v[224:227], v12 offset:6144                   // 0000000086C0: D9FE1800 E000000C
	ds_read_b128 v[228:231], v12 offset:7168                   // 0000000086C8: D9FE1C00 E400000C
	v_mfma_f32_16x16x32_bf16 v[108:111], v[44:47], a[8:11], v[108:111]// 0000000086D0: D3B5006C 15B2112C
	s_mov_b32 m0, s82                                          // 0000000086D8: BEFC0052
	buffer_load_dword v2, s[8:11], 0 idxen lds                 // 0000000086DC: E0512000 80020002
	v_mfma_f32_16x16x32_bf16 v[108:111], v[48:51], a[12:15], v[108:111]// 0000000086E4: D3B5006C 15B21930
	ds_read_b128 v[232:235], v12 offset:8192                   // 0000000086EC: D9FE2000 E800000C
	ds_read_b128 v[236:239], v12 offset:9216                   // 0000000086F4: D9FE2400 EC00000C
	v_mfma_f32_16x16x32_bf16 v[108:111], v[52:55], a[16:19], v[108:111]// 0000000086FC: D3B5006C 15B22134
	s_mov_b32 m0, s83                                          // 000000008704: BEFC0053
	buffer_load_dword v3, s[8:11], 0 idxen lds                 // 000000008708: E0512000 80020003
	v_mfma_f32_16x16x32_bf16 v[108:111], v[56:59], a[20:23], v[108:111]// 000000008710: D3B5006C 15B22938
	ds_read_b128 v[240:243], v12 offset:10240                  // 000000008718: D9FE2800 F000000C
	ds_read_b128 v[244:247], v12 offset:11264                  // 000000008720: D9FE2C00 F400000C
	v_mfma_f32_16x16x32_bf16 v[112:115], v[36:39], a[24:27], 0 // 000000008728: D3B50070 12023124
	s_mov_b32 m0, s90                                          // 000000008730: BEFC005A
	buffer_load_dwordx4 v4, s[20:23], 0 idxen lds              // 000000008734: E05D2000 80050004
	v_mfma_f32_16x16x32_bf16 v[112:115], v[40:43], a[28:31], v[112:115]// 00000000873C: D3B50070 15C23928
	ds_read_b128 a[0:3], v17                                   // 000000008744: DBFE0000 00000011
	ds_read_b128 a[4:7], v17 offset:1024                       // 00000000874C: DBFE0400 04000011
	v_mfma_f32_16x16x32_bf16 v[112:115], v[44:47], a[32:35], v[112:115]// 000000008754: D3B50070 15C2412C
	v_mul_f32_e32 v108, s47, v108                              // 00000000875C: 0AD8D82F
	v_mul_f32_e32 v109, s47, v109                              // 000000008760: 0ADADA2F
	s_mov_b32 m0, s78                                          // 000000008764: BEFC004E
	buffer_load_dword v11, s[24:27], 0 idxen lds               // 000000008768: E0512000 8006000B
	v_mfma_f32_16x16x32_bf16 v[112:115], v[48:51], a[36:39], v[112:115]// 000000008770: D3B50070 15C24930
	ds_read_b128 a[8:11], v17 offset:2048                      // 000000008778: DBFE0800 08000011
	ds_read_b128 a[12:15], v17 offset:3072                     // 000000008780: DBFE0C00 0C000011
	v_mfma_f32_16x16x32_bf16 v[112:115], v[52:55], a[40:43], v[112:115]// 000000008788: D3B50070 15C25134
	s_add_u32 s60, 64, s59                                     // 000000008790: 803C3BC0
	s_cmp_lt_u32 s60, s58                                      // 000000008794: BF0A3A3C
	s_cselect_b32 s68, s68, 0                                  // 000000008798: 85448044
	s_cselect_b32 s101, s101, 0                                // 00000000879C: 85658065
	s_cselect_b32 s69, s69, 0                                  // 0000000087A0: 85458045
	v_mfma_f32_16x16x32_bf16 v[112:115], v[56:59], a[44:47], v[112:115]// 0000000087A4: D3B50070 15C25938
	ds_read_b128 a[16:19], v17 offset:4096                     // 0000000087AC: DBFE1000 10000011
	ds_read_b128 a[20:23], v17 offset:5120                     // 0000000087B4: DBFE1400 14000011
	v_mfma_f32_16x16x32_bf16 v[116:119], v[36:39], a[48:51], 0 // 0000000087BC: D3B50074 12026124
	v_add_u32_e32 v1, s68, v1                                  // 0000000087C4: 68020244
	v_add_u32_e32 v2, s68, v2                                  // 0000000087C8: 68040444
	v_add_u32_e32 v3, s68, v3                                  // 0000000087CC: 68060644
	v_add_u32_e32 v4, s101, v4                                 // 0000000087D0: 68080865
	v_add_u32_e32 v11, s69, v11                                // 0000000087D4: 68161645
	v_mfma_f32_16x16x32_bf16 v[116:119], v[40:43], a[52:55], v[116:119]// 0000000087D8: D3B50074 15D26928
	ds_read_b128 a[24:27], v17 offset:24576                    // 0000000087E0: DBFE6000 18000011
	ds_read_b128 a[28:31], v17 offset:25600                    // 0000000087E8: DBFE6400 1C000011
	s_waitcnt lgkmcnt(14)                                      // 0000000087F0: BF8CCE7F
	v_mfma_f32_16x16x32_bf16 v[116:119], v[44:47], a[56:59], v[116:119]// 0000000087F4: D3B50074 15D2712C
	v_mul_f32_e32 v110, s47, v110                              // 0000000087FC: 0ADCDC2F
	v_mul_f32_e32 v111, s47, v111                              // 000000008800: 0ADEDE2F
	s_cmp_ge_u32 s59, s73                                      // 000000008804: BF09493B
	s_cselect_b32 s66, s67, s66                                // 000000008808: 85424243
	v_mfma_f32_16x16x32_bf16 v[116:119], v[48:51], a[60:63], v[116:119]// 00000000880C: D3B50074 15D27930
	ds_read_b128 a[32:35], v17 offset:26624                    // 000000008814: DBFE6800 20000011
	ds_read_b128 a[36:39], v17 offset:27648                    // 00000000881C: DBFE6C00 24000011
	v_mfma_f32_16x16x32_bf16 v[116:119], v[52:55], v[248:251], v[116:119]// 000000008824: D3B50074 05D3F134
	s_addk_i32 s59, 0x10                                       // 00000000882C: B73B0010
	v_mul_f32_e32 v112, s47, v112                              // 000000008830: 0AE0E02F
	v_mul_f32_e32 v113, s47, v113                              // 000000008834: 0AE2E22F
	s_cmp_lt_i32 s59, s58                                      // 000000008838: BF043A3B
	v_mfma_f32_16x16x32_bf16 v[116:119], v[56:59], v[252:255], v[116:119]// 00000000883C: D3B50074 05D3F938
	ds_read_b128 a[40:43], v17 offset:28672                    // 000000008844: DBFE7000 28000011
	ds_read_b128 a[44:47], v17 offset:29696                    // 00000000884C: DBFE7400 2C000011
	s_cbranch_scc0 label_0F20                                  // 000000008854: BF84FCFB
	s_waitcnt lgkmcnt(2)                                       // 000000008858: BF8CC27F
	v_mfma_f32_16x16x32_bf16 v[36:39], v[224:227], a[0:3], 0   // 00000000885C: D3B50024 120201E0
	v_add_u32_e32 v7, s66, v7                                  // 000000008864: 680E0E42
	v_add_u32_e32 v8, s66, v8                                  // 000000008868: 68101042
	v_mfma_f32_16x16x32_bf16 v[36:39], v[228:231], a[4:7], v[36:39]// 00000000886C: D3B50024 149209E4
	ds_read_b128 a[48:51], v17 offset:49152                    // 000000008874: DBFEC000 30000011
	ds_read_b128 a[52:55], v17 offset:50176                    // 00000000887C: DBFEC400 34000011
	v_mfma_f32_16x16x32_bf16 v[36:39], v[232:235], a[8:11], v[36:39]// 000000008884: D3B50024 149211E8
	v_add_u32_e32 v9, s66, v9                                  // 00000000888C: 68121242
	v_add_u32_e32 v10, s66, v10                                // 000000008890: 68141442
	v_mfma_f32_16x16x32_bf16 v[36:39], v[236:239], a[12:15], v[36:39]// 000000008894: D3B50024 149219EC
	ds_read_b128 a[56:59], v17 offset:51200                    // 00000000889C: DBFEC800 38000011
	ds_read_b128 a[60:63], v17 offset:52224                    // 0000000088A4: DBFECC00 3C000011
	v_mfma_f32_16x16x32_bf16 v[36:39], v[240:243], a[16:19], v[36:39]// 0000000088AC: D3B50024 149221F0
	v_mul_f32_e32 v114, s47, v114                              // 0000000088B4: 0AE4E42F
	v_mul_f32_e32 v115, s47, v115                              // 0000000088B8: 0AE6E62F
	v_mfma_f32_16x16x32_bf16 v[36:39], v[244:247], a[20:23], v[36:39]// 0000000088BC: D3B50024 149229F4
	ds_read_b128 v[248:251], v17 offset:53248                  // 0000000088C4: D9FED000 F8000011
	ds_read_b128 v[252:255], v17 offset:54272                  // 0000000088CC: D9FED400 FC000011
	v_mfma_f32_16x16x32_bf16 v[40:43], v[224:227], a[24:27], 0 // 0000000088D4: D3B50028 120231E0
	v_mul_f32_e32 v116, s47, v116                              // 0000000088DC: 0AE8E82F
	v_mul_f32_e32 v117, s47, v117                              // 0000000088E0: 0AEAEA2F
	v_mfma_f32_16x16x32_bf16 v[40:43], v[228:231], a[28:31], v[40:43]// 0000000088E4: D3B50028 14A239E4
	ds_read_b128 v[72:75], v12 offset:22528                    // 0000000088EC: D9FE5800 4800000C
	ds_read_b128 v[76:79], v12 offset:23552                    // 0000000088F4: D9FE5C00 4C00000C
	v_mfma_f32_16x16x32_bf16 v[40:43], v[232:235], a[32:35], v[40:43]// 0000000088FC: D3B50028 14A241E8
	v_mul_f32_e32 v118, s47, v118                              // 000000008904: 0AECEC2F
	v_mul_f32_e32 v119, s47, v119                              // 000000008908: 0AEEEE2F
	buffer_atomic_add_f32 v108, v7, s[32:35], 0 offen          // 00000000890C: E1341000 80086C07
	v_mfma_f32_16x16x32_bf16 v[40:43], v[236:239], a[36:39], v[40:43]// 000000008914: D3B50028 14A249EC
	ds_read_b128 v[80:83], v12 offset:24576                    // 00000000891C: D9FE6000 5000000C
	ds_read_b128 v[84:87], v12 offset:25600                    // 000000008924: D9FE6400 5400000C
	s_waitcnt lgkmcnt(10)                                      // 00000000892C: BF8CCA7F
	v_mfma_f32_16x16x32_bf16 v[40:43], v[240:243], a[40:43], v[40:43]// 000000008930: D3B50028 14A251F0
	v_fma_f32 v36, v36, s57, -v104                             // 000000008938: D1CB0024 85A07324
	v_fma_f32 v37, v37, s57, -v105                             // 000000008940: D1CB0025 85A47325
	v_mfma_f32_16x16x32_bf16 v[40:43], v[244:247], a[44:47], v[40:43]// 000000008948: D3B50028 14A259F4
	ds_read_b64_tr_b16 v[88:89], v13 offset:22528              // 000000008950: D9C65800 5800000D
	ds_read_b64_tr_b16 v[90:91], v13 offset:22784              // 000000008958: D9C65900 5A00000D
	s_waitcnt lgkmcnt(10)                                      // 000000008960: BF8CCA7F
	v_mfma_f32_16x16x32_bf16 v[44:47], v[224:227], a[48:51], 0 // 000000008964: D3B5002C 120261E0
	v_fma_f32 v38, v38, s57, -v106                             // 00000000896C: D1CB0026 85A87326
	v_fma_f32 v39, v39, s57, -v107                             // 000000008974: D1CB0027 85AC7327
	v_mfma_f32_16x16x32_bf16 v[44:47], v[228:231], a[52:55], v[44:47]// 00000000897C: D3B5002C 14B269E4
	ds_read_b64_tr_b16 v[92:93], v13 offset:23552              // 000000008984: D9C65C00 5C00000D
	ds_read_b64_tr_b16 v[94:95], v13 offset:23808              // 00000000898C: D9C65D00 5E00000D
	s_waitcnt lgkmcnt(10)                                      // 000000008994: BF8CCA7F
	v_mfma_f32_16x16x32_bf16 v[44:47], v[232:235], a[56:59], v[44:47]// 000000008998: D3B5002C 14B271E8
	v_fma_f32 v40, v40, s57, -v104                             // 0000000089A0: D1CB0028 85A07328
	v_fma_f32 v41, v41, s57, -v105                             // 0000000089A8: D1CB0029 85A47329
	buffer_atomic_add_f32 v109, v8, s[32:35], 0 offen          // 0000000089B0: E1341000 80086D08
	v_mfma_f32_16x16x32_bf16 v[44:47], v[236:239], a[60:63], v[44:47]// 0000000089B8: D3B5002C 14B279EC
	ds_read_b64_tr_b16 v[96:97], v13 offset:24576              // 0000000089C0: D9C66000 6000000D
	ds_read_b64_tr_b16 v[98:99], v13 offset:24832              // 0000000089C8: D9C66100 6200000D
	s_waitcnt lgkmcnt(10)                                      // 0000000089D0: BF8CCA7F
	v_mfma_f32_16x16x32_bf16 v[44:47], v[240:243], v[248:251], v[44:47]// 0000000089D4: D3B5002C 04B3F1F0
	v_fma_f32 v42, v42, s57, -v106                             // 0000000089DC: D1CB002A 85A8732A
	v_fma_f32 v43, v43, s57, -v107                             // 0000000089E4: D1CB002B 85AC732B
	v_mfma_f32_16x16x32_bf16 v[44:47], v[244:247], v[252:255], v[44:47]// 0000000089EC: D3B5002C 04B3F9F4
	ds_read_b64_tr_b16 v[100:101], v13 offset:25600            // 0000000089F4: D9C66400 6400000D
	ds_read_b64_tr_b16 v[102:103], v13 offset:25856            // 0000000089FC: D9C66500 6600000D
	s_cmp_lt_i32 s74, 12                                       // 000000008A04: BF048C4A
	s_cbranch_scc0 label_130C                                  // 000000008A08: BF840075
	s_mov_b32 s60, 0xffe0fffe                                  // 000000008A0C: BEBC00FF FFE0FFFE
	s_mov_b32 s61, 0xe000fe00                                  // 000000008A14: BEBD00FF E000FE00
	s_nop 0                                                    // 000000008A1C: BF800000
	s_add_u32 s62, 0, s46                                      // 000000008A20: 803E2E80
	s_cmp_lt_i32 s74, s62                                      // 000000008A24: BF043E4A
	s_cbranch_scc1 label_12C7                                  // 000000008A28: BF850028
	s_cmp_eq_i32 s74, s62                                      // 000000008A2C: BF003E4A
	s_cbranch_scc1 label_12AC                                  // 000000008A30: BF85000B
	s_add_u32 s62, 4, s46                                      // 000000008A34: 803E2E84
	s_cmp_lt_i32 s74, s62                                      // 000000008A38: BF043E4A
	s_cbranch_scc1 label_12E7                                  // 000000008A3C: BF850043
	s_cmp_eq_i32 s74, s62                                      // 000000008A40: BF003E4A
	s_cbranch_scc1 label_12CC                                  // 000000008A44: BF850026
	s_add_u32 s62, 8, s46                                      // 000000008A48: 803E2E88
	s_cmp_lt_i32 s74, s62                                      // 000000008A4C: BF043E4A
	s_cbranch_scc1 label_1307                                  // 000000008A50: BF85005E
	s_cmp_eq_i32 s74, s62                                      // 000000008A54: BF003E4A
	s_cbranch_scc1 label_12EC                                  // 000000008A58: BF850041
	s_branch label_130C                                        // 000000008A5C: BF820060

0000000000008a60 <label_12AC>:
	v_cndmask_b32_e64 v36, v36, v127, s[60:61]                 // 000000008A60: D1000024 00F2FF24
	s_lshl_b32 s60, s60, 1                                     // 000000008A68: 8E3C813C
	s_lshl_b32 s61, s61, 1                                     // 000000008A6C: 8E3D813D
	s_and_b32 s60, 0xfffeffff, s60                             // 000000008A70: 863C3CFF FFFEFFFF
	s_and_b32 s61, 0xfffeffff, s61                             // 000000008A78: 863D3DFF FFFEFFFF
	v_cndmask_b32_e64 v37, v37, v127, s[60:61]                 // 000000008A80: D1000025 00F2FF25
	s_lshl_b32 s60, s60, 1                                     // 000000008A88: 8E3C813C
	s_lshl_b32 s61, s61, 1                                     // 000000008A8C: 8E3D813D
	s_and_b32 s60, 0xfffeffff, s60                             // 000000008A90: 863C3CFF FFFEFFFF
	s_and_b32 s61, 0xfffeffff, s61                             // 000000008A98: 863D3DFF FFFEFFFF
	v_cndmask_b32_e64 v38, v38, v127, s[60:61]                 // 000000008AA0: D1000026 00F2FF26
	s_lshl_b32 s60, s60, 1                                     // 000000008AA8: 8E3C813C
	s_lshl_b32 s61, s61, 1                                     // 000000008AAC: 8E3D813D
	s_and_b32 s60, 0xfffeffff, s60                             // 000000008AB0: 863C3CFF FFFEFFFF
	s_and_b32 s61, 0xfffeffff, s61                             // 000000008AB8: 863D3DFF FFFEFFFF
	v_cndmask_b32_e64 v39, v39, v127, s[60:61]                 // 000000008AC0: D1000027 00F2FF27
	s_branch label_12E7                                        // 000000008AC8: BF820020

0000000000008acc <label_12C7>:
	v_mov_b32_e32 v36, v127                                    // 000000008ACC: 7E48037F
	v_mov_b32_e32 v37, v127                                    // 000000008AD0: 7E4A037F
	v_mov_b32_e32 v38, v127                                    // 000000008AD4: 7E4C037F
	v_mov_b32_e32 v39, v127                                    // 000000008AD8: 7E4E037F
	s_branch label_12E7                                        // 000000008ADC: BF82001B

0000000000008ae0 <label_12CC>:
	v_cndmask_b32_e64 v40, v40, v127, s[60:61]                 // 000000008AE0: D1000028 00F2FF28
	s_lshl_b32 s60, s60, 1                                     // 000000008AE8: 8E3C813C
	s_lshl_b32 s61, s61, 1                                     // 000000008AEC: 8E3D813D
	s_and_b32 s60, 0xfffeffff, s60                             // 000000008AF0: 863C3CFF FFFEFFFF
	s_and_b32 s61, 0xfffeffff, s61                             // 000000008AF8: 863D3DFF FFFEFFFF
	v_cndmask_b32_e64 v41, v41, v127, s[60:61]                 // 000000008B00: D1000029 00F2FF29
	s_lshl_b32 s60, s60, 1                                     // 000000008B08: 8E3C813C
	s_lshl_b32 s61, s61, 1                                     // 000000008B0C: 8E3D813D
	s_and_b32 s60, 0xfffeffff, s60                             // 000000008B10: 863C3CFF FFFEFFFF
	s_and_b32 s61, 0xfffeffff, s61                             // 000000008B18: 863D3DFF FFFEFFFF
	v_cndmask_b32_e64 v42, v42, v127, s[60:61]                 // 000000008B20: D100002A 00F2FF2A
	s_lshl_b32 s60, s60, 1                                     // 000000008B28: 8E3C813C
	s_lshl_b32 s61, s61, 1                                     // 000000008B2C: 8E3D813D
	s_and_b32 s60, 0xfffeffff, s60                             // 000000008B30: 863C3CFF FFFEFFFF
	s_and_b32 s61, 0xfffeffff, s61                             // 000000008B38: 863D3DFF FFFEFFFF
	v_cndmask_b32_e64 v43, v43, v127, s[60:61]                 // 000000008B40: D100002B 00F2FF2B
	s_branch label_1307                                        // 000000008B48: BF820020

0000000000008b4c <label_12E7>:
	v_mov_b32_e32 v40, v127                                    // 000000008B4C: 7E50037F
	v_mov_b32_e32 v41, v127                                    // 000000008B50: 7E52037F
	v_mov_b32_e32 v42, v127                                    // 000000008B54: 7E54037F
	v_mov_b32_e32 v43, v127                                    // 000000008B58: 7E56037F
	s_branch label_1307                                        // 000000008B5C: BF82001B

0000000000008b60 <label_12EC>:
	v_cndmask_b32_e64 v44, v44, v127, s[60:61]                 // 000000008B60: D100002C 00F2FF2C
	s_lshl_b32 s60, s60, 1                                     // 000000008B68: 8E3C813C
	s_lshl_b32 s61, s61, 1                                     // 000000008B6C: 8E3D813D
	s_and_b32 s60, 0xfffeffff, s60                             // 000000008B70: 863C3CFF FFFEFFFF
	s_and_b32 s61, 0xfffeffff, s61                             // 000000008B78: 863D3DFF FFFEFFFF
	v_cndmask_b32_e64 v45, v45, v127, s[60:61]                 // 000000008B80: D100002D 00F2FF2D
	s_lshl_b32 s60, s60, 1                                     // 000000008B88: 8E3C813C
	s_lshl_b32 s61, s61, 1                                     // 000000008B8C: 8E3D813D
	s_and_b32 s60, 0xfffeffff, s60                             // 000000008B90: 863C3CFF FFFEFFFF
	s_and_b32 s61, 0xfffeffff, s61                             // 000000008B98: 863D3DFF FFFEFFFF
	v_cndmask_b32_e64 v46, v46, v127, s[60:61]                 // 000000008BA0: D100002E 00F2FF2E
	s_lshl_b32 s60, s60, 1                                     // 000000008BA8: 8E3C813C
	s_lshl_b32 s61, s61, 1                                     // 000000008BAC: 8E3D813D
	s_and_b32 s60, 0xfffeffff, s60                             // 000000008BB0: 863C3CFF FFFEFFFF
	s_and_b32 s61, 0xfffeffff, s61                             // 000000008BB8: 863D3DFF FFFEFFFF
	v_cndmask_b32_e64 v47, v47, v127, s[60:61]                 // 000000008BC0: D100002F 00F2FF2F
	s_branch label_130C                                        // 000000008BC8: BF820005

0000000000008bcc <label_1307>:
	v_mov_b32_e32 v44, v127                                    // 000000008BCC: 7E58037F
	v_mov_b32_e32 v45, v127                                    // 000000008BD0: 7E5A037F
	v_mov_b32_e32 v46, v127                                    // 000000008BD4: 7E5C037F
	v_mov_b32_e32 v47, v127                                    // 000000008BD8: 7E5E037F
	s_branch label_130C                                        // 000000008BDC: BF820000

0000000000008be0 <label_130C>:
	s_cmp_lt_i32 s64, 0xc0                                     // 000000008BE0: BF04FF40 000000C0
	s_cbranch_scc0 label_1361                                  // 000000008BE8: BF84004D
	s_cmp_le_i32 s64, 64                                       // 000000008BEC: BF05C040
	s_cbranch_scc1 label_1318                                  // 000000008BF0: BF850007
	s_cmp_le_i32 s64, 0x80                                     // 000000008BF4: BF05FF40 00000080
	s_cbranch_scc1 label_1330                                  // 000000008BFC: BF850017
	s_cmp_lt_i32 s64, 0xc0                                     // 000000008C00: BF04FF40 000000C0
	s_cbranch_scc1 label_1348                                  // 000000008C08: BF85002C
	s_branch label_1361                                        // 000000008C0C: BF820044

0000000000008c10 <label_1318>:
	s_mov_b32 s60, 0                                           // 000000008C10: BEBC0080
	v_and_b32_e32 v32, 15, v0                                  // 000000008C14: 2640008F
	v_add_u32_e64 v32, v32, s60                                // 000000008C18: D1340020 00007920
	v_mul_i32_i24_e64 v33, s46, 16                             // 000000008C20: D1060021 0001202E
	v_add_u32_e32 v32, v32, v33                                // 000000008C28: 68404320
	v_cmp_lt_u32_e64 s[60:61], v32, s64                        // 000000008C2C: D0C9003C 00008120
	s_nop 1                                                    // 000000008C34: BF800001
	v_cndmask_b32_e64 v36, v127, v36, s[60:61]                 // 000000008C38: D1000024 00F2497F
	v_cndmask_b32_e64 v37, v127, v37, s[60:61]                 // 000000008C40: D1000025 00F24B7F
	v_cndmask_b32_e64 v38, v127, v38, s[60:61]                 // 000000008C48: D1000026 00F24D7F
	v_cndmask_b32_e64 v39, v127, v39, s[60:61]                 // 000000008C50: D1000027 00F24F7F
	s_branch label_1343                                        // 000000008C58: BF820013

0000000000008c5c <label_1330>:
	s_mov_b32 s60, 64                                          // 000000008C5C: BEBC00C0
	v_and_b32_e32 v32, 15, v0                                  // 000000008C60: 2640008F
	v_add_u32_e64 v32, v32, s60                                // 000000008C64: D1340020 00007920
	v_mul_i32_i24_e64 v33, s46, 16                             // 000000008C6C: D1060021 0001202E
	v_add_u32_e32 v32, v32, v33                                // 000000008C74: 68404320
	v_cmp_lt_u32_e64 s[60:61], v32, s64                        // 000000008C78: D0C9003C 00008120
	s_nop 1                                                    // 000000008C80: BF800001
	v_cndmask_b32_e64 v40, v127, v40, s[60:61]                 // 000000008C84: D1000028 00F2517F
	v_cndmask_b32_e64 v41, v127, v41, s[60:61]                 // 000000008C8C: D1000029 00F2537F
	v_cndmask_b32_e64 v42, v127, v42, s[60:61]                 // 000000008C94: D100002A 00F2557F
	v_cndmask_b32_e64 v43, v127, v43, s[60:61]                 // 000000008C9C: D100002B 00F2577F
	s_branch label_135C                                        // 000000008CA4: BF820019

0000000000008ca8 <label_1343>:
	v_mov_b32_e32 v40, v127                                    // 000000008CA8: 7E50037F
	v_mov_b32_e32 v41, v127                                    // 000000008CAC: 7E52037F
	v_mov_b32_e32 v42, v127                                    // 000000008CB0: 7E54037F
	v_mov_b32_e32 v43, v127                                    // 000000008CB4: 7E56037F
	s_branch label_135C                                        // 000000008CB8: BF820014

0000000000008cbc <label_1348>:
	s_mov_b32 s60, 0x80                                        // 000000008CBC: BEBC00FF 00000080
	v_and_b32_e32 v32, 15, v0                                  // 000000008CC4: 2640008F
	v_add_u32_e64 v32, v32, s60                                // 000000008CC8: D1340020 00007920
	v_mul_i32_i24_e64 v33, s46, 16                             // 000000008CD0: D1060021 0001202E
	v_add_u32_e32 v32, v32, v33                                // 000000008CD8: 68404320
	v_cmp_lt_u32_e64 s[60:61], v32, s64                        // 000000008CDC: D0C9003C 00008120
	s_nop 1                                                    // 000000008CE4: BF800001
	v_cndmask_b32_e64 v44, v127, v44, s[60:61]                 // 000000008CE8: D100002C 00F2597F
	v_cndmask_b32_e64 v45, v127, v45, s[60:61]                 // 000000008CF0: D100002D 00F25B7F
	v_cndmask_b32_e64 v46, v127, v46, s[60:61]                 // 000000008CF8: D100002E 00F25D7F
	v_cndmask_b32_e64 v47, v127, v47, s[60:61]                 // 000000008D00: D100002F 00F25F7F
	s_branch label_1361                                        // 000000008D08: BF820005

0000000000008d0c <label_135C>:
	v_mov_b32_e32 v44, v127                                    // 000000008D0C: 7E58037F
	v_mov_b32_e32 v45, v127                                    // 000000008D10: 7E5A037F
	v_mov_b32_e32 v46, v127                                    // 000000008D14: 7E5C037F
	v_mov_b32_e32 v47, v127                                    // 000000008D18: 7E5E037F
	s_branch label_1361                                        // 000000008D1C: BF820000

0000000000008d20 <label_1361>:
	s_addk_i32 s74, 0x1                                        // 000000008D20: B74A0001
	s_waitcnt lgkmcnt(8)                                       // 000000008D24: BF8CC87F
	v_mfma_f32_16x16x32_bf16 v[60:63], v[72:75], a[64:67], 0   // 000000008D28: D3B5003C 12028148
	v_exp_f32_e32 v36, v36                                     // 000000008D30: 7E484124
	v_exp_f32_e32 v37, v37                                     // 000000008D34: 7E4A4125
	v_mfma_f32_16x16x32_bf16 v[60:63], v[76:79], a[68:71], v[60:63]// 000000008D38: D3B5003C 14F2894C
	v_exp_f32_e32 v38, v38                                     // 000000008D40: 7E4C4126
	v_exp_f32_e32 v39, v39                                     // 000000008D44: 7E4E4127
	v_mfma_f32_16x16x32_bf16 v[60:63], v[80:83], a[72:75], v[60:63]// 000000008D48: D3B5003C 14F29150
	v_fma_f32 v44, v44, s57, -v104                             // 000000008D50: D1CB002C 85A0732C
	v_fma_f32 v45, v45, s57, -v105                             // 000000008D58: D1CB002D 85A4732D
	v_exp_f32_e32 v40, v40                                     // 000000008D60: 7E504128
	v_exp_f32_e32 v41, v41                                     // 000000008D64: 7E524129
	buffer_atomic_add_f32 v110, v9, s[32:35], 0 offen          // 000000008D68: E1341000 80086E09
	v_mfma_f32_16x16x32_bf16 v[60:63], v[84:87], a[76:79], v[60:63]// 000000008D70: D3B5003C 14F29954
	ds_read_b64_tr_b16 v[224:225], v13 offset:6144             // 000000008D78: D9C61800 E000000D
	ds_read_b64_tr_b16 v[226:227], v13 offset:6400             // 000000008D80: D9C61900 E200000D
	ds_read_b64_tr_b16 v[228:229], v13 offset:7168             // 000000008D88: D9C61C00 E400000D
	ds_read_b64_tr_b16 v[230:231], v13 offset:7424             // 000000008D90: D9C61D00 E600000D
	v_mfma_f32_16x16x32_bf16 v[64:67], v[72:75], a[80:83], 0   // 000000008D98: D3B50040 1202A148
	v_fma_f32 v46, v46, s57, -v106                             // 000000008DA0: D1CB002E 85A8732E
	v_fma_f32 v47, v47, s57, -v107                             // 000000008DA8: D1CB002F 85AC732F
	v_exp_f32_e32 v42, v42                                     // 000000008DB0: 7E54412A
	v_exp_f32_e32 v43, v43                                     // 000000008DB4: 7E56412B
	v_mfma_f32_16x16x32_bf16 v[64:67], v[76:79], a[84:87], v[64:67]// 000000008DB8: D3B50040 1502A94C
	ds_read_b64_tr_b16 v[232:233], v13 offset:8192             // 000000008DC0: D9C62000 E800000D
	ds_read_b64_tr_b16 v[234:235], v13 offset:8448             // 000000008DC8: D9C62100 EA00000D
	ds_read_b64_tr_b16 v[236:237], v13 offset:9216             // 000000008DD0: D9C62400 EC00000D
	ds_read_b64_tr_b16 v[238:239], v13 offset:9472             // 000000008DD8: D9C62500 EE00000D
	v_mfma_f32_16x16x32_bf16 v[64:67], v[80:83], a[88:91], v[64:67]// 000000008DE0: D3B50040 1502B150
	v_exp_f32_e32 v44, v44                                     // 000000008DE8: 7E58412C
	v_exp_f32_e32 v45, v45                                     // 000000008DEC: 7E5A412D
	v_mfma_f32_16x16x32_bf16 v[64:67], v[84:87], a[92:95], v[64:67]// 000000008DF0: D3B50040 1502B954
	v_cvt_pk_bf16_f32 v120, v36, v37                           // 000000008DF8: D2680078 00024B24
	v_cvt_pk_bf16_f32 v121, v38, v39                           // 000000008E00: D2680079 00024F26
	v_cvt_pk_bf16_f32 v122, v40, v41                           // 000000008E08: D268007A 00025328
	v_cvt_pk_bf16_f32 v123, v42, v43                           // 000000008E10: D268007B 0002572A
	v_mfma_f32_16x16x32_bf16 v[68:71], v[72:75], a[96:99], 0   // 000000008E18: D3B50044 1202C148
	v_exp_f32_e32 v46, v46                                     // 000000008E20: 7E5C412E
	v_exp_f32_e32 v47, v47                                     // 000000008E24: 7E5E412F
	v_mfma_f32_16x16x32_bf16 v[68:71], v[76:79], a[100:103], v[68:71]// 000000008E28: D3B50044 1512C94C
	v_permlane16_swap_b32_e32 v120, v122                       // 000000008E30: 7EF0B37A
	v_permlane16_swap_b32_e32 v121, v123                       // 000000008E34: 7EF2B37B
	v_mfma_f32_16x16x32_bf16 v[68:71], v[80:83], a[104:107], v[68:71]// 000000008E38: D3B50044 1512D150
	v_cvt_pk_bf16_f32 v124, v44, v45                           // 000000008E40: D268007C 00025B2C
	v_cvt_pk_bf16_f32 v125, v46, v47                           // 000000008E48: D268007D 00025F2E
	buffer_atomic_add_f32 v111, v10, s[32:35], 0 offen         // 000000008E50: E1341000 80086F0A
	v_mfma_f32_16x16x32_bf16 v[68:71], v[84:87], a[108:111], v[68:71]// 000000008E58: D3B50044 1512D954
	ds_read_b64_tr_b16 v[240:241], v13 offset:10240            // 000000008E60: D9C62800 F000000D
	ds_read_b64_tr_b16 v[242:243], v13 offset:10496            // 000000008E68: D9C62900 F200000D
	ds_read_b64_tr_b16 v[244:245], v13 offset:11264            // 000000008E70: D9C62C00 F400000D
	ds_read_b64_tr_b16 v[246:247], v13 offset:11520            // 000000008E78: D9C62D00 F600000D
	s_waitcnt lgkmcnt(12)                                      // 000000008E80: BF8CCC7F
	v_mfma_f32_32x32x16_bf16 v[128:143], v[88:91], v[120:123], v[128:143]// 000000008E84: D3B70080 0602F158
	v_subrev_f32_dpp v60, v126, v60 quad_perm:[0,0,0,0] row_mask:0xf bank_mask:0xf// 000000008E8C: 067878FA FF00007E
	v_subrev_f32_dpp v61, v126, v61 quad_perm:[1,1,1,1] row_mask:0xf bank_mask:0xf// 000000008E94: 067A7AFA FF00557E
	v_subrev_f32_dpp v62, v126, v62 quad_perm:[2,2,2,2] row_mask:0xf bank_mask:0xf// 000000008E9C: 067C7CFA FF00AA7E
	v_subrev_f32_dpp v63, v126, v63 quad_perm:[3,3,3,3] row_mask:0xf bank_mask:0xf// 000000008EA4: 067E7EFA FF00FF7E
	v_subrev_f32_dpp v64, v126, v64 quad_perm:[0,0,0,0] row_mask:0xf bank_mask:0xf// 000000008EAC: 068080FA FF00007E
	v_subrev_f32_dpp v65, v126, v65 quad_perm:[1,1,1,1] row_mask:0xf bank_mask:0xf// 000000008EB4: 068282FA FF00557E
	v_subrev_f32_dpp v66, v126, v66 quad_perm:[2,2,2,2] row_mask:0xf bank_mask:0xf// 000000008EBC: 068484FA FF00AA7E
	v_subrev_f32_dpp v67, v126, v67 quad_perm:[3,3,3,3] row_mask:0xf bank_mask:0xf// 000000008EC4: 068686FA FF00FF7E
	v_mul_f32_e32 v60, v36, v60                                // 000000008ECC: 0A787924
	v_mul_f32_e32 v61, v37, v61                                // 000000008ED0: 0A7A7B25
	v_mul_f32_e32 v62, v38, v62                                // 000000008ED4: 0A7C7D26
	v_mul_f32_e32 v63, v39, v63                                // 000000008ED8: 0A7E7F27
	v_mfma_f32_32x32x16_bf16 v[144:159], v[92:95], v[120:123], v[144:159]// 000000008EDC: D3B70090 0642F15C
	ds_read_b64_tr_b16 a[0:1], v19                             // 000000008EE4: DBC60000 00000013
	ds_read_b64_tr_b16 a[2:3], v19 offset:256                  // 000000008EEC: DBC60100 02000013
	ds_read_b64_tr_b16 a[4:5], v19 offset:12288                // 000000008EF4: DBC63000 04000013
	ds_read_b64_tr_b16 a[6:7], v19 offset:12544                // 000000008EFC: DBC63100 06000013
	ds_read_b64_tr_b16 a[8:9], v19 offset:24576                // 000000008F04: DBC66000 08000013
	buffer_atomic_add_f32 v112, v7, s[32:35], 0 offen offset:64// 000000008F0C: E1341040 80087007
	v_mfma_f32_32x32x16_bf16 v[160:175], v[96:99], v[120:123], v[160:175]// 000000008F14: D3B700A0 0682F160
	v_mul_f32_e32 v64, v40, v64                                // 000000008F1C: 0A808128
	v_mul_f32_e32 v65, v41, v65                                // 000000008F20: 0A828329
	v_mul_f32_e32 v66, v42, v66                                // 000000008F24: 0A84852A
	v_mul_f32_e32 v67, v43, v67                                // 000000008F28: 0A86872B
	v_permlane16_swap_b32_e32 v88, v90                         // 000000008F2C: 7EB0B35A
	v_permlane16_swap_b32_e32 v89, v91                         // 000000008F30: 7EB2B35B
	v_cvt_pk_bf16_f32 v60, v60, v61                            // 000000008F34: D268003C 00027B3C
	v_cvt_pk_bf16_f32 v61, v62, v63                            // 000000008F3C: D268003D 00027F3E
	v_cvt_pk_bf16_f32 v62, v64, v65                            // 000000008F44: D268003E 00028340
	v_cvt_pk_bf16_f32 v63, v66, v67                            // 000000008F4C: D268003F 00028742
	v_permlane16_swap_b32_e32 v92, v94                         // 000000008F54: 7EB8B35E
	v_permlane16_swap_b32_e32 v93, v95                         // 000000008F58: 7EBAB35F
	v_mfma_f32_32x32x16_bf16 v[176:191], v[100:103], v[120:123], v[176:191]// 000000008F5C: D3B700B0 06C2F164
	ds_read_b64_tr_b16 a[10:11], v19 offset:24832              // 000000008F64: DBC66100 0A000013
	ds_read_b64_tr_b16 a[12:13], v19 offset:36864              // 000000008F6C: DBC69000 0C000013
	ds_read_b64_tr_b16 a[14:15], v19 offset:37120              // 000000008F74: DBC69100 0E000013
	ds_read_b64_tr_b16 a[16:17], v19 offset:49152              // 000000008F7C: DBC6C000 10000013
	ds_read_b64_tr_b16 a[18:19], v19 offset:49408              // 000000008F84: DBC6C100 12000013
	ds_read_b32 v104, v16 offset:38656                         // 000000008F8C: D86C9700 68000010
	v_mfma_f32_16x16x16_bf16 v[192:195], v[88:89], v[124:125], v[192:195]// 000000008F94: D3E100C0 0702F958
	v_permlane16_swap_b32_e32 v96, v98                         // 000000008F9C: 7EC0B362
	v_permlane16_swap_b32_e32 v97, v99                         // 000000008FA0: 7EC2B363
	v_subrev_f32_dpp v68, v126, v68 quad_perm:[0,0,0,0] row_mask:0xf bank_mask:0xf// 000000008FA4: 068888FA FF00007E
	v_subrev_f32_dpp v69, v126, v69 quad_perm:[1,1,1,1] row_mask:0xf bank_mask:0xf// 000000008FAC: 068A8AFA FF00557E
	v_mfma_f32_16x16x16_bf16 v[196:199], v[90:91], v[124:125], v[196:199]// 000000008FB4: D3E100C4 0712F95A
	buffer_atomic_add_f32 v113, v8, s[32:35], 0 offen offset:64// 000000008FBC: E1341040 80087108
	ds_write_b64 v15, v[60:61] offset:30720                    // 000000008FC4: D89A7800 00003C0F
	ds_write_b64 v15, v[62:63] offset:33024                    // 000000008FCC: D89A8100 00003E0F
	v_mfma_f32_16x16x16_bf16 v[200:203], v[92:93], v[124:125], v[200:203]// 000000008FD4: D3E100C8 0722F95C
	v_permlane16_swap_b32_e32 v100, v102                       // 000000008FDC: 7EC8B366
	v_permlane16_swap_b32_e32 v101, v103                       // 000000008FE0: 7ECAB367
	v_subrev_f32_dpp v70, v126, v70 quad_perm:[2,2,2,2] row_mask:0xf bank_mask:0xf// 000000008FE4: 068C8CFA FF00AA7E
	v_subrev_f32_dpp v71, v126, v71 quad_perm:[3,3,3,3] row_mask:0xf bank_mask:0xf// 000000008FEC: 068E8EFA FF00FF7E
	v_mfma_f32_16x16x16_bf16 v[204:207], v[94:95], v[124:125], v[204:207]// 000000008FF4: D3E100CC 0732F95E
	v_permlane16_swap_b32_e32 v60, v62                         // 000000008FFC: 7E78B33E
	v_permlane16_swap_b32_e32 v61, v63                         // 000000009000: 7E7AB33F
	v_mfma_f32_16x16x16_bf16 v[208:211], v[96:97], v[124:125], v[208:211]// 000000009004: D3E100D0 0742F960
	v_mul_f32_e32 v68, v44, v68                                // 00000000900C: 0A88892C
	v_mul_f32_e32 v69, v45, v69                                // 000000009010: 0A8A8B2D
	v_mul_f32_e32 v70, v46, v70                                // 000000009014: 0A8C8D2E
	v_mfma_f32_16x16x16_bf16 v[212:215], v[98:99], v[124:125], v[212:215]// 000000009018: D3E100D4 0752F962
	ds_read_b64_tr_b16 a[20:21], v19 offset:61440              // 000000009020: DBC6F000 14000013
	ds_read_b64_tr_b16 a[22:23], v19 offset:61696              // 000000009028: DBC6F100 16000013
	ds_read_b64_tr_b16 a[24:25], v20                           // 000000009030: DBC60000 18000014
	v_mfma_f32_16x16x16_bf16 v[216:219], v[100:101], v[124:125], v[216:219]// 000000009038: D3E100D8 0762F964
	v_mul_f32_e32 v71, v47, v71                                // 000000009040: 0A8E8F2F
	v_cvt_pk_bf16_f32 v64, v68, v69                            // 000000009044: D2680040 00028B44
	v_cvt_pk_bf16_f32 v65, v70, v71                            // 00000000904C: D2680041 00028F46
	v_mfma_f32_16x16x16_bf16 v[220:223], v[102:103], v[124:125], v[220:223]// 000000009054: D3E100DC 0772F966
	ds_read_b32 v126, v16 offset:38912                         // 00000000905C: D86C9800 7E000010
	ds_read_b64_tr_b16 a[26:27], v20 offset:256                // 000000009064: DBC60100 1A000014
	ds_read_b64_tr_b16 a[28:29], v20 offset:12288              // 00000000906C: DBC63000 1C000014
	s_waitcnt lgkmcnt(8)                                       // 000000009074: BF8CC87F
	v_mfma_f32_32x32x16_bf16 a[112:127], v[224:227], v[60:63], a[112:127]// 000000009078: D3B78070 05C279E0
	v_mul_f32_e32 v104, s48, v104                              // 000000009080: 0AD0D030
	buffer_atomic_add_f32 v114, v9, s[32:35], 0 offen offset:64// 000000009084: E1341040 80087209
	v_mfma_f32_32x32x16_bf16 a[128:143], v[228:231], v[60:63], a[128:143]// 00000000908C: D3B78080 060279E4
	ds_read_b64_tr_b16 a[30:31], v20 offset:12544              // 000000009094: DBC63100 1E000014
	ds_write_b64 v15, v[64:65] offset:35328                    // 00000000909C: D89A8A00 0000400F
	ds_read_b64_tr_b16 a[32:33], v20 offset:24576              // 0000000090A4: DBC66000 20000014
	ds_read_b64_tr_b16 a[34:35], v20 offset:24832              // 0000000090AC: DBC66100 22000014
	v_mfma_f32_32x32x16_bf16 a[144:159], v[232:235], v[60:63], a[144:159]// 0000000090B4: D3B78090 064279E8
	.long 0x7fc0b3e2                                           // 0000000090BC: 7FC0B3E2
	.long 0x7fc2b3e3                                           // 0000000090C0: 7FC2B3E3
	buffer_atomic_add_f32 v115, v10, s[32:35], 0 offen offset:64// 0000000090C4: E1341040 8008730A
	v_mfma_f32_32x32x16_bf16 a[160:175], v[236:239], v[60:63], a[160:175]// 0000000090CC: D3B780A0 068279EC
	ds_read_b64_tr_b16 a[36:37], v20 offset:36864              // 0000000090D4: DBC69000 24000014
	ds_read_b64_tr_b16 a[38:39], v20 offset:37120              // 0000000090DC: DBC69100 26000014
	ds_read_b64_tr_b16 a[40:41], v20 offset:49152              // 0000000090E4: DBC6C000 28000014
	ds_read_b64_tr_b16 a[42:43], v20 offset:49408              // 0000000090EC: DBC6C100 2A000014
	ds_read_b64_tr_b16 a[44:45], v20 offset:61440              // 0000000090F4: DBC6F000 2C000014
	ds_read_b64_tr_b16 a[46:47], v20 offset:61696              // 0000000090FC: DBC6F100 2E000014
	s_waitcnt lgkmcnt(8)                                       // 000000009104: BF8CC87F
	s_barrier                                                  // 000000009108: BF8A0000
	v_mfma_f32_32x32x16_bf16 a[176:191], v[240:243], v[60:63], a[176:191]// 00000000910C: D3B780B0 06C279F0
	.long 0x7fc8b3e6                                           // 000000009114: 7FC8B3E6
	.long 0x7fcab3e7                                           // 000000009118: 7FCAB3E7
	v_mov_b32_dpp v107, v104 quad_perm:[3,3,3,3] row_mask:0xf bank_mask:0xf// 00000000911C: 7ED602FA FF00FF68
	v_mov_b32_dpp v106, v104 quad_perm:[2,2,2,2] row_mask:0xf bank_mask:0xf// 000000009124: 7ED402FA FF00AA68
	buffer_atomic_add_f32 v116, v7, s[32:35], 0 offen offset:128// 00000000912C: E1341080 80087407
	v_mfma_f32_32x32x16_bf16 a[192:207], v[244:247], v[60:63], a[192:207]// 000000009134: D3B780C0 070279F4
	ds_read_b64_tr_b16 v[36:37], v14 offset:30720              // 00000000913C: D9C67800 2400000E
	ds_read_b64_tr_b16 v[38:39], v14 offset:30752              // 000000009144: D9C67820 2600000E
	ds_read_b64_tr_b16 v[40:41], v14 offset:31872              // 00000000914C: D9C67C80 2800000E
	ds_read_b64_tr_b16 v[42:43], v14 offset:31904              // 000000009154: D9C67CA0 2A00000E
	ds_read_b64_tr_b16 v[44:45], v14 offset:33024              // 00000000915C: D9C68100 2C00000E
	ds_read_b64_tr_b16 v[46:47], v14 offset:33056              // 000000009164: D9C68120 2E00000E
	v_mfma_f32_16x16x16_bf16 a[208:211], v[224:225], v[64:65], a[208:211]// 00000000916C: D3E180D0 074281E0
	.long 0x7fd0b3ea                                           // 000000009174: 7FD0B3EA
	.long 0x7fd2b3eb                                           // 000000009178: 7FD2B3EB
	v_mfma_f32_16x16x16_bf16 a[212:215], v[226:227], v[64:65], a[212:215]// 00000000917C: D3E180D4 075281E2
	ds_read_b64_tr_b16 v[48:49], v14 offset:34176              // 000000009184: D9C68580 3000000E
	ds_read_b64_tr_b16 v[50:51], v14 offset:34208              // 00000000918C: D9C685A0 3200000E
	ds_read_b64_tr_b16 v[52:53], v14 offset:35328              // 000000009194: D9C68A00 3400000E
	v_mfma_f32_16x16x16_bf16 a[216:219], v[228:229], v[64:65], a[216:219]// 00000000919C: D3E180D8 076281E4
	v_permlane16_swap_b32_e32 v236, v238                       // 0000000091A4: 7FD8B3EE
	v_permlane16_swap_b32_e32 v237, v239                       // 0000000091A8: 7FDAB3EF
	buffer_atomic_add_f32 v117, v8, s[32:35], 0 offen offset:128// 0000000091AC: E1341080 80087508
	v_mfma_f32_16x16x16_bf16 a[220:223], v[230:231], v[64:65], a[220:223]// 0000000091B4: D3E180DC 077281E6
	ds_read_b64_tr_b16 v[54:55], v14 offset:35360              // 0000000091BC: D9C68A20 3600000E
	ds_read_b64_tr_b16 v[56:57], v14 offset:36480              // 0000000091C4: D9C68E80 3800000E
	ds_read_b64_tr_b16 v[58:59], v14 offset:36512              // 0000000091CC: D9C68EA0 3A00000E
	v_mfma_f32_16x16x16_bf16 a[224:227], v[232:233], v[64:65], a[224:227]// 0000000091D4: D3E180E0 078281E8
	v_permlane16_swap_b32_e32 v240, v242                       // 0000000091DC: 7FE0B3F2
	v_permlane16_swap_b32_e32 v241, v243                       // 0000000091E0: 7FE2B3F3
	v_mfma_f32_16x16x16_bf16 a[228:231], v[234:235], v[64:65], a[228:231]// 0000000091E4: D3E180E4 079281EA
	ds_read_b64_tr_b16 a[48:49], v21                           // 0000000091EC: DBC60000 30000015
	ds_read_b64_tr_b16 a[50:51], v21 offset:256                // 0000000091F4: DBC60100 32000015
	ds_read_b64_tr_b16 a[52:53], v21 offset:12288              // 0000000091FC: DBC63000 34000015
	v_mfma_f32_16x16x16_bf16 a[232:235], v[236:237], v[64:65], a[232:235]// 000000009204: D3E180E8 07A281EC
	v_permlane16_swap_b32_e32 v244, v246                       // 00000000920C: 7FE8B3F6
	v_permlane16_swap_b32_e32 v245, v247                       // 000000009210: 7FEAB3F7
	v_mfma_f32_16x16x16_bf16 a[236:239], v[238:239], v[64:65], a[236:239]// 000000009214: D3E180EC 07B281EE
	ds_read_b64_tr_b16 a[54:55], v21 offset:12544              // 00000000921C: DBC63100 36000015
	ds_read_b64_tr_b16 a[56:57], v21 offset:24576              // 000000009224: DBC66000 38000015
	ds_read_b64_tr_b16 a[58:59], v21 offset:24832              // 00000000922C: DBC66100 3A000015
	v_mfma_f32_16x16x16_bf16 a[240:243], v[240:241], v[64:65], a[240:243]// 000000009234: D3E180F0 07C281F0
	v_mov_b32_dpp v105, v104 quad_perm:[1,1,1,1] row_mask:0xf bank_mask:0xf// 00000000923C: 7ED202FA FF005568
	buffer_atomic_add_f32 v118, v9, s[32:35], 0 offen offset:128// 000000009244: E1341080 80087609
	v_mfma_f32_16x16x16_bf16 a[244:247], v[242:243], v[64:65], a[244:247]// 00000000924C: D3E180F4 07D281F2
	ds_read_b64_tr_b16 a[60:61], v21 offset:36864              // 000000009254: DBC69000 3C000015
	ds_read_b64_tr_b16 a[62:63], v21 offset:37120              // 00000000925C: DBC69100 3E000015
	ds_read_b64_tr_b16 v[248:249], v21 offset:49152            // 000000009264: D9C6C000 F8000015
	v_mfma_f32_16x16x16_bf16 a[248:251], v[244:245], v[64:65], a[248:251]// 00000000926C: D3E180F8 07E281F4
	v_mov_b32_dpp v104, v104 quad_perm:[0,0,0,0] row_mask:0xf bank_mask:0xf// 000000009274: 7ED002FA FF000068
	buffer_atomic_add_f32 v119, v10, s[32:35], 0 offen offset:128// 00000000927C: E1341080 8008770A
	v_mfma_f32_16x16x16_bf16 a[252:255], v[246:247], v[64:65], a[252:255]// 000000009284: D3E180FC 07F281F6
	ds_read_b64_tr_b16 v[250:251], v21 offset:49408            // 00000000928C: D9C6C100 FA000015
	ds_read_b64_tr_b16 v[252:253], v21 offset:61440            // 000000009294: D9C6F000 FC000015
	ds_read_b64_tr_b16 v[254:255], v21 offset:61696            // 00000000929C: D9C6F100 FE000015
	s_waitcnt vmcnt(12) lgkmcnt(6)                             // 0000000092A4: BF8C067C
	s_barrier                                                  // 0000000092A8: BF8A0000
	v_mfma_f32_16x16x32_bf16 v[108:111], v[36:39], a[0:3], 0   // 0000000092AC: D3B5006C 12020124
	s_mov_b32 m0, s84                                          // 0000000092B4: BEFC0054
	buffer_load_dwordx4 v1, s[8:11], 0 idxen lds               // 0000000092B8: E05D2000 80020001
	v_mfma_f32_16x16x32_bf16 v[108:111], v[40:43], a[4:7], v[108:111]// 0000000092C0: D3B5006C 15B20928
	ds_read_b128 v[224:227], v12 offset:12288                  // 0000000092C8: D9FE3000 E000000C
	ds_read_b128 v[228:231], v12 offset:13312                  // 0000000092D0: D9FE3400 E400000C
	v_mfma_f32_16x16x32_bf16 v[108:111], v[44:47], a[8:11], v[108:111]// 0000000092D8: D3B5006C 15B2112C
	s_mov_b32 m0, s85                                          // 0000000092E0: BEFC0055
	buffer_load_dword v2, s[8:11], 0 idxen lds                 // 0000000092E4: E0512000 80020002
	v_mfma_f32_16x16x32_bf16 v[108:111], v[48:51], a[12:15], v[108:111]// 0000000092EC: D3B5006C 15B21930
	ds_read_b128 v[232:235], v12 offset:14336                  // 0000000092F4: D9FE3800 E800000C
	ds_read_b128 v[236:239], v12 offset:15360                  // 0000000092FC: D9FE3C00 EC00000C
	v_mfma_f32_16x16x32_bf16 v[108:111], v[52:55], a[16:19], v[108:111]// 000000009304: D3B5006C 15B22134
	s_mov_b32 m0, s86                                          // 00000000930C: BEFC0056
	buffer_load_dword v3, s[8:11], 0 idxen lds                 // 000000009310: E0512000 80020003
	v_mfma_f32_16x16x32_bf16 v[108:111], v[56:59], a[20:23], v[108:111]// 000000009318: D3B5006C 15B22938
	ds_read_b128 v[240:243], v12 offset:16384                  // 000000009320: D9FE4000 F000000C
	ds_read_b128 v[244:247], v12 offset:17408                  // 000000009328: D9FE4400 F400000C
	v_mfma_f32_16x16x32_bf16 v[112:115], v[36:39], a[24:27], 0 // 000000009330: D3B50070 12023124
	s_mov_b32 m0, s91                                          // 000000009338: BEFC005B
	buffer_load_dwordx4 v4, s[20:23], 0 idxen lds              // 00000000933C: E05D2000 80050004
	v_mfma_f32_16x16x32_bf16 v[112:115], v[40:43], a[28:31], v[112:115]// 000000009344: D3B50070 15C23928
	ds_read_b128 a[0:3], v17                                   // 00000000934C: DBFE0000 00000011
	ds_read_b128 a[4:7], v17 offset:1024                       // 000000009354: DBFE0400 04000011
	v_mfma_f32_16x16x32_bf16 v[112:115], v[44:47], a[32:35], v[112:115]// 00000000935C: D3B50070 15C2412C
	v_mul_f32_e32 v108, s47, v108                              // 000000009364: 0AD8D82F
	v_mul_f32_e32 v109, s47, v109                              // 000000009368: 0ADADA2F
	s_mov_b32 m0, s79                                          // 00000000936C: BEFC004F
	buffer_load_dword v11, s[24:27], 0 idxen lds               // 000000009370: E0512000 8006000B
	v_mfma_f32_16x16x32_bf16 v[112:115], v[48:51], a[36:39], v[112:115]// 000000009378: D3B50070 15C24930
	ds_read_b128 a[8:11], v17 offset:2048                      // 000000009380: DBFE0800 08000011
	ds_read_b128 a[12:15], v17 offset:3072                     // 000000009388: DBFE0C00 0C000011
	v_mfma_f32_16x16x32_bf16 v[112:115], v[52:55], a[40:43], v[112:115]// 000000009390: D3B50070 15C25134
	s_add_u32 s60, 64, s59                                     // 000000009398: 803C3BC0
	s_cmp_lt_u32 s60, s58                                      // 00000000939C: BF0A3A3C
	s_cselect_b32 s68, s68, 0                                  // 0000000093A0: 85448044
	s_cselect_b32 s101, s101, 0                                // 0000000093A4: 85658065
	s_cselect_b32 s69, s69, 0                                  // 0000000093A8: 85458045
	v_mfma_f32_16x16x32_bf16 v[112:115], v[56:59], a[44:47], v[112:115]// 0000000093AC: D3B50070 15C25938
	ds_read_b128 a[16:19], v17 offset:4096                     // 0000000093B4: DBFE1000 10000011
	ds_read_b128 a[20:23], v17 offset:5120                     // 0000000093BC: DBFE1400 14000011
	v_mfma_f32_16x16x32_bf16 v[116:119], v[36:39], a[48:51], 0 // 0000000093C4: D3B50074 12026124
	v_add_u32_e32 v1, s68, v1                                  // 0000000093CC: 68020244
	v_add_u32_e32 v2, s68, v2                                  // 0000000093D0: 68040444
	v_add_u32_e32 v3, s68, v3                                  // 0000000093D4: 68060644
	v_add_u32_e32 v4, s101, v4                                 // 0000000093D8: 68080865
	v_add_u32_e32 v11, s69, v11                                // 0000000093DC: 68161645
	v_mfma_f32_16x16x32_bf16 v[116:119], v[40:43], a[52:55], v[116:119]// 0000000093E0: D3B50074 15D26928
	ds_read_b128 a[24:27], v17 offset:24576                    // 0000000093E8: DBFE6000 18000011
	ds_read_b128 a[28:31], v17 offset:25600                    // 0000000093F0: DBFE6400 1C000011
	s_waitcnt lgkmcnt(14)                                      // 0000000093F8: BF8CCE7F
	v_mfma_f32_16x16x32_bf16 v[116:119], v[44:47], a[56:59], v[116:119]// 0000000093FC: D3B50074 15D2712C
	v_mul_f32_e32 v110, s47, v110                              // 000000009404: 0ADCDC2F
	v_mul_f32_e32 v111, s47, v111                              // 000000009408: 0ADEDE2F
	s_cmp_ge_u32 s59, s73                                      // 00000000940C: BF09493B
	s_cselect_b32 s66, s67, s66                                // 000000009410: 85424243
	v_mfma_f32_16x16x32_bf16 v[116:119], v[48:51], a[60:63], v[116:119]// 000000009414: D3B50074 15D27930
	ds_read_b128 a[32:35], v17 offset:26624                    // 00000000941C: DBFE6800 20000011
	ds_read_b128 a[36:39], v17 offset:27648                    // 000000009424: DBFE6C00 24000011
	v_mfma_f32_16x16x32_bf16 v[116:119], v[52:55], v[248:251], v[116:119]// 00000000942C: D3B50074 05D3F134
	s_addk_i32 s59, 0x10                                       // 000000009434: B73B0010
	v_mul_f32_e32 v112, s47, v112                              // 000000009438: 0AE0E02F
	v_mul_f32_e32 v113, s47, v113                              // 00000000943C: 0AE2E22F
	s_cmp_lt_i32 s59, s58                                      // 000000009440: BF043A3B
	v_mfma_f32_16x16x32_bf16 v[116:119], v[56:59], v[252:255], v[116:119]// 000000009444: D3B50074 05D3F938
	ds_read_b128 a[40:43], v17 offset:28672                    // 00000000944C: DBFE7000 28000011
	ds_read_b128 a[44:47], v17 offset:29696                    // 000000009454: DBFE7400 2C000011
	s_cbranch_scc0 label_0F20                                  // 00000000945C: BF84F9F9
	s_waitcnt lgkmcnt(2)                                       // 000000009460: BF8CC27F
	v_mfma_f32_16x16x32_bf16 v[36:39], v[224:227], a[0:3], 0   // 000000009464: D3B50024 120201E0
	v_add_u32_e32 v7, s66, v7                                  // 00000000946C: 680E0E42
	v_add_u32_e32 v8, s66, v8                                  // 000000009470: 68101042
	v_mfma_f32_16x16x32_bf16 v[36:39], v[228:231], a[4:7], v[36:39]// 000000009474: D3B50024 149209E4
	ds_read_b128 a[48:51], v17 offset:49152                    // 00000000947C: DBFEC000 30000011
	ds_read_b128 a[52:55], v17 offset:50176                    // 000000009484: DBFEC400 34000011
	v_mfma_f32_16x16x32_bf16 v[36:39], v[232:235], a[8:11], v[36:39]// 00000000948C: D3B50024 149211E8
	v_add_u32_e32 v9, s66, v9                                  // 000000009494: 68121242
	v_add_u32_e32 v10, s66, v10                                // 000000009498: 68141442
	v_mfma_f32_16x16x32_bf16 v[36:39], v[236:239], a[12:15], v[36:39]// 00000000949C: D3B50024 149219EC
	ds_read_b128 a[56:59], v17 offset:51200                    // 0000000094A4: DBFEC800 38000011
	ds_read_b128 a[60:63], v17 offset:52224                    // 0000000094AC: DBFECC00 3C000011
	v_mfma_f32_16x16x32_bf16 v[36:39], v[240:243], a[16:19], v[36:39]// 0000000094B4: D3B50024 149221F0
	v_mul_f32_e32 v114, s47, v114                              // 0000000094BC: 0AE4E42F
	v_mul_f32_e32 v115, s47, v115                              // 0000000094C0: 0AE6E62F
	v_mfma_f32_16x16x32_bf16 v[36:39], v[244:247], a[20:23], v[36:39]// 0000000094C4: D3B50024 149229F4
	ds_read_b128 v[248:251], v17 offset:53248                  // 0000000094CC: D9FED000 F8000011
	ds_read_b128 v[252:255], v17 offset:54272                  // 0000000094D4: D9FED400 FC000011
	v_mfma_f32_16x16x32_bf16 v[40:43], v[224:227], a[24:27], 0 // 0000000094DC: D3B50028 120231E0
	v_mul_f32_e32 v116, s47, v116                              // 0000000094E4: 0AE8E82F
	v_mul_f32_e32 v117, s47, v117                              // 0000000094E8: 0AEAEA2F
	v_mfma_f32_16x16x32_bf16 v[40:43], v[228:231], a[28:31], v[40:43]// 0000000094EC: D3B50028 14A239E4
	ds_read_b128 v[72:75], v12 offset:26624                    // 0000000094F4: D9FE6800 4800000C
	ds_read_b128 v[76:79], v12 offset:27648                    // 0000000094FC: D9FE6C00 4C00000C
	v_mfma_f32_16x16x32_bf16 v[40:43], v[232:235], a[32:35], v[40:43]// 000000009504: D3B50028 14A241E8
	v_mul_f32_e32 v118, s47, v118                              // 00000000950C: 0AECEC2F
	v_mul_f32_e32 v119, s47, v119                              // 000000009510: 0AEEEE2F
	buffer_atomic_add_f32 v108, v7, s[32:35], 0 offen          // 000000009514: E1341000 80086C07
	v_mfma_f32_16x16x32_bf16 v[40:43], v[236:239], a[36:39], v[40:43]// 00000000951C: D3B50028 14A249EC
	ds_read_b128 v[80:83], v12 offset:28672                    // 000000009524: D9FE7000 5000000C
	ds_read_b128 v[84:87], v12 offset:29696                    // 00000000952C: D9FE7400 5400000C
	s_waitcnt lgkmcnt(10)                                      // 000000009534: BF8CCA7F
	v_mfma_f32_16x16x32_bf16 v[40:43], v[240:243], a[40:43], v[40:43]// 000000009538: D3B50028 14A251F0
	v_fma_f32 v36, v36, s57, -v104                             // 000000009540: D1CB0024 85A07324
	v_fma_f32 v37, v37, s57, -v105                             // 000000009548: D1CB0025 85A47325
	v_mfma_f32_16x16x32_bf16 v[40:43], v[244:247], a[44:47], v[40:43]// 000000009550: D3B50028 14A259F4
	ds_read_b64_tr_b16 v[88:89], v13 offset:26624              // 000000009558: D9C66800 5800000D
	ds_read_b64_tr_b16 v[90:91], v13 offset:26880              // 000000009560: D9C66900 5A00000D
	s_waitcnt lgkmcnt(10)                                      // 000000009568: BF8CCA7F
	v_mfma_f32_16x16x32_bf16 v[44:47], v[224:227], a[48:51], 0 // 00000000956C: D3B5002C 120261E0
	v_fma_f32 v38, v38, s57, -v106                             // 000000009574: D1CB0026 85A87326
	v_fma_f32 v39, v39, s57, -v107                             // 00000000957C: D1CB0027 85AC7327
	v_mfma_f32_16x16x32_bf16 v[44:47], v[228:231], a[52:55], v[44:47]// 000000009584: D3B5002C 14B269E4
	ds_read_b64_tr_b16 v[92:93], v13 offset:27648              // 00000000958C: D9C66C00 5C00000D
	ds_read_b64_tr_b16 v[94:95], v13 offset:27904              // 000000009594: D9C66D00 5E00000D
	s_waitcnt lgkmcnt(10)                                      // 00000000959C: BF8CCA7F
	v_mfma_f32_16x16x32_bf16 v[44:47], v[232:235], a[56:59], v[44:47]// 0000000095A0: D3B5002C 14B271E8
	v_fma_f32 v40, v40, s57, -v104                             // 0000000095A8: D1CB0028 85A07328
	v_fma_f32 v41, v41, s57, -v105                             // 0000000095B0: D1CB0029 85A47329
	buffer_atomic_add_f32 v109, v8, s[32:35], 0 offen          // 0000000095B8: E1341000 80086D08
	v_mfma_f32_16x16x32_bf16 v[44:47], v[236:239], a[60:63], v[44:47]// 0000000095C0: D3B5002C 14B279EC
	ds_read_b64_tr_b16 v[96:97], v13 offset:28672              // 0000000095C8: D9C67000 6000000D
	ds_read_b64_tr_b16 v[98:99], v13 offset:28928              // 0000000095D0: D9C67100 6200000D
	s_waitcnt lgkmcnt(10)                                      // 0000000095D8: BF8CCA7F
	v_mfma_f32_16x16x32_bf16 v[44:47], v[240:243], v[248:251], v[44:47]// 0000000095DC: D3B5002C 04B3F1F0
	v_fma_f32 v42, v42, s57, -v106                             // 0000000095E4: D1CB002A 85A8732A
	v_fma_f32 v43, v43, s57, -v107                             // 0000000095EC: D1CB002B 85AC732B
	v_mfma_f32_16x16x32_bf16 v[44:47], v[244:247], v[252:255], v[44:47]// 0000000095F4: D3B5002C 04B3F9F4
	ds_read_b64_tr_b16 v[100:101], v13 offset:29696            // 0000000095FC: D9C67400 6400000D
	ds_read_b64_tr_b16 v[102:103], v13 offset:29952            // 000000009604: D9C67500 6600000D
	s_cmp_lt_i32 s74, 12                                       // 00000000960C: BF048C4A
	s_cbranch_scc0 label_1613                                  // 000000009610: BF840075
	s_mov_b32 s60, 0xffe0fffe                                  // 000000009614: BEBC00FF FFE0FFFE
	s_mov_b32 s61, 0xe000fe00                                  // 00000000961C: BEBD00FF E000FE00
	s_nop 0                                                    // 000000009624: BF800000
	s_add_u32 s62, 0, s46                                      // 000000009628: 803E2E80
	s_cmp_lt_i32 s74, s62                                      // 00000000962C: BF043E4A
	s_cbranch_scc1 label_15CE                                  // 000000009630: BF850028
	s_cmp_eq_i32 s74, s62                                      // 000000009634: BF003E4A
	s_cbranch_scc1 label_15B3                                  // 000000009638: BF85000B
	s_add_u32 s62, 4, s46                                      // 00000000963C: 803E2E84
	s_cmp_lt_i32 s74, s62                                      // 000000009640: BF043E4A
	s_cbranch_scc1 label_15EE                                  // 000000009644: BF850043
	s_cmp_eq_i32 s74, s62                                      // 000000009648: BF003E4A
	s_cbranch_scc1 label_15D3                                  // 00000000964C: BF850026
	s_add_u32 s62, 8, s46                                      // 000000009650: 803E2E88
	s_cmp_lt_i32 s74, s62                                      // 000000009654: BF043E4A
	s_cbranch_scc1 label_160E                                  // 000000009658: BF85005E
	s_cmp_eq_i32 s74, s62                                      // 00000000965C: BF003E4A
	s_cbranch_scc1 label_15F3                                  // 000000009660: BF850041
	s_branch label_1613                                        // 000000009664: BF820060

0000000000009668 <label_15B3>:
	v_cndmask_b32_e64 v36, v36, v127, s[60:61]                 // 000000009668: D1000024 00F2FF24
	s_lshl_b32 s60, s60, 1                                     // 000000009670: 8E3C813C
	s_lshl_b32 s61, s61, 1                                     // 000000009674: 8E3D813D
	s_and_b32 s60, 0xfffeffff, s60                             // 000000009678: 863C3CFF FFFEFFFF
	s_and_b32 s61, 0xfffeffff, s61                             // 000000009680: 863D3DFF FFFEFFFF
	v_cndmask_b32_e64 v37, v37, v127, s[60:61]                 // 000000009688: D1000025 00F2FF25
	s_lshl_b32 s60, s60, 1                                     // 000000009690: 8E3C813C
	s_lshl_b32 s61, s61, 1                                     // 000000009694: 8E3D813D
	s_and_b32 s60, 0xfffeffff, s60                             // 000000009698: 863C3CFF FFFEFFFF
	s_and_b32 s61, 0xfffeffff, s61                             // 0000000096A0: 863D3DFF FFFEFFFF
	v_cndmask_b32_e64 v38, v38, v127, s[60:61]                 // 0000000096A8: D1000026 00F2FF26
	s_lshl_b32 s60, s60, 1                                     // 0000000096B0: 8E3C813C
	s_lshl_b32 s61, s61, 1                                     // 0000000096B4: 8E3D813D
	s_and_b32 s60, 0xfffeffff, s60                             // 0000000096B8: 863C3CFF FFFEFFFF
	s_and_b32 s61, 0xfffeffff, s61                             // 0000000096C0: 863D3DFF FFFEFFFF
	v_cndmask_b32_e64 v39, v39, v127, s[60:61]                 // 0000000096C8: D1000027 00F2FF27
	s_branch label_15EE                                        // 0000000096D0: BF820020

00000000000096d4 <label_15CE>:
	v_mov_b32_e32 v36, v127                                    // 0000000096D4: 7E48037F
	v_mov_b32_e32 v37, v127                                    // 0000000096D8: 7E4A037F
	v_mov_b32_e32 v38, v127                                    // 0000000096DC: 7E4C037F
	v_mov_b32_e32 v39, v127                                    // 0000000096E0: 7E4E037F
	s_branch label_15EE                                        // 0000000096E4: BF82001B

00000000000096e8 <label_15D3>:
	v_cndmask_b32_e64 v40, v40, v127, s[60:61]                 // 0000000096E8: D1000028 00F2FF28
	s_lshl_b32 s60, s60, 1                                     // 0000000096F0: 8E3C813C
	s_lshl_b32 s61, s61, 1                                     // 0000000096F4: 8E3D813D
	s_and_b32 s60, 0xfffeffff, s60                             // 0000000096F8: 863C3CFF FFFEFFFF
	s_and_b32 s61, 0xfffeffff, s61                             // 000000009700: 863D3DFF FFFEFFFF
	v_cndmask_b32_e64 v41, v41, v127, s[60:61]                 // 000000009708: D1000029 00F2FF29
	s_lshl_b32 s60, s60, 1                                     // 000000009710: 8E3C813C
	s_lshl_b32 s61, s61, 1                                     // 000000009714: 8E3D813D
	s_and_b32 s60, 0xfffeffff, s60                             // 000000009718: 863C3CFF FFFEFFFF
	s_and_b32 s61, 0xfffeffff, s61                             // 000000009720: 863D3DFF FFFEFFFF
	v_cndmask_b32_e64 v42, v42, v127, s[60:61]                 // 000000009728: D100002A 00F2FF2A
	s_lshl_b32 s60, s60, 1                                     // 000000009730: 8E3C813C
	s_lshl_b32 s61, s61, 1                                     // 000000009734: 8E3D813D
	s_and_b32 s60, 0xfffeffff, s60                             // 000000009738: 863C3CFF FFFEFFFF
	s_and_b32 s61, 0xfffeffff, s61                             // 000000009740: 863D3DFF FFFEFFFF
	v_cndmask_b32_e64 v43, v43, v127, s[60:61]                 // 000000009748: D100002B 00F2FF2B
	s_branch label_160E                                        // 000000009750: BF820020

0000000000009754 <label_15EE>:
	v_mov_b32_e32 v40, v127                                    // 000000009754: 7E50037F
	v_mov_b32_e32 v41, v127                                    // 000000009758: 7E52037F
	v_mov_b32_e32 v42, v127                                    // 00000000975C: 7E54037F
	v_mov_b32_e32 v43, v127                                    // 000000009760: 7E56037F
	s_branch label_160E                                        // 000000009764: BF82001B

0000000000009768 <label_15F3>:
	v_cndmask_b32_e64 v44, v44, v127, s[60:61]                 // 000000009768: D100002C 00F2FF2C
	s_lshl_b32 s60, s60, 1                                     // 000000009770: 8E3C813C
	s_lshl_b32 s61, s61, 1                                     // 000000009774: 8E3D813D
	s_and_b32 s60, 0xfffeffff, s60                             // 000000009778: 863C3CFF FFFEFFFF
	s_and_b32 s61, 0xfffeffff, s61                             // 000000009780: 863D3DFF FFFEFFFF
	v_cndmask_b32_e64 v45, v45, v127, s[60:61]                 // 000000009788: D100002D 00F2FF2D
	s_lshl_b32 s60, s60, 1                                     // 000000009790: 8E3C813C
	s_lshl_b32 s61, s61, 1                                     // 000000009794: 8E3D813D
	s_and_b32 s60, 0xfffeffff, s60                             // 000000009798: 863C3CFF FFFEFFFF
	s_and_b32 s61, 0xfffeffff, s61                             // 0000000097A0: 863D3DFF FFFEFFFF
	v_cndmask_b32_e64 v46, v46, v127, s[60:61]                 // 0000000097A8: D100002E 00F2FF2E
	s_lshl_b32 s60, s60, 1                                     // 0000000097B0: 8E3C813C
	s_lshl_b32 s61, s61, 1                                     // 0000000097B4: 8E3D813D
	s_and_b32 s60, 0xfffeffff, s60                             // 0000000097B8: 863C3CFF FFFEFFFF
	s_and_b32 s61, 0xfffeffff, s61                             // 0000000097C0: 863D3DFF FFFEFFFF
	v_cndmask_b32_e64 v47, v47, v127, s[60:61]                 // 0000000097C8: D100002F 00F2FF2F
	s_branch label_1613                                        // 0000000097D0: BF820005

00000000000097d4 <label_160E>:
	v_mov_b32_e32 v44, v127                                    // 0000000097D4: 7E58037F
	v_mov_b32_e32 v45, v127                                    // 0000000097D8: 7E5A037F
	v_mov_b32_e32 v46, v127                                    // 0000000097DC: 7E5C037F
	v_mov_b32_e32 v47, v127                                    // 0000000097E0: 7E5E037F
	s_branch label_1613                                        // 0000000097E4: BF820000

00000000000097e8 <label_1613>:
	s_cmp_lt_i32 s64, 0xc0                                     // 0000000097E8: BF04FF40 000000C0
	s_cbranch_scc0 label_1668                                  // 0000000097F0: BF84004D
	s_cmp_le_i32 s64, 64                                       // 0000000097F4: BF05C040
	s_cbranch_scc1 label_161F                                  // 0000000097F8: BF850007
	s_cmp_le_i32 s64, 0x80                                     // 0000000097FC: BF05FF40 00000080
	s_cbranch_scc1 label_1637                                  // 000000009804: BF850017
	s_cmp_lt_i32 s64, 0xc0                                     // 000000009808: BF04FF40 000000C0
	s_cbranch_scc1 label_164F                                  // 000000009810: BF85002C
	s_branch label_1668                                        // 000000009814: BF820044

0000000000009818 <label_161F>:
	s_mov_b32 s60, 0                                           // 000000009818: BEBC0080
	v_and_b32_e32 v32, 15, v0                                  // 00000000981C: 2640008F
	v_add_u32_e64 v32, v32, s60                                // 000000009820: D1340020 00007920
	v_mul_i32_i24_e64 v33, s46, 16                             // 000000009828: D1060021 0001202E
	v_add_u32_e32 v32, v32, v33                                // 000000009830: 68404320
	v_cmp_lt_u32_e64 s[60:61], v32, s64                        // 000000009834: D0C9003C 00008120
	s_nop 1                                                    // 00000000983C: BF800001
	v_cndmask_b32_e64 v36, v127, v36, s[60:61]                 // 000000009840: D1000024 00F2497F
	v_cndmask_b32_e64 v37, v127, v37, s[60:61]                 // 000000009848: D1000025 00F24B7F
	v_cndmask_b32_e64 v38, v127, v38, s[60:61]                 // 000000009850: D1000026 00F24D7F
	v_cndmask_b32_e64 v39, v127, v39, s[60:61]                 // 000000009858: D1000027 00F24F7F
	s_branch label_164A                                        // 000000009860: BF820013

0000000000009864 <label_1637>:
	s_mov_b32 s60, 64                                          // 000000009864: BEBC00C0
	v_and_b32_e32 v32, 15, v0                                  // 000000009868: 2640008F
	v_add_u32_e64 v32, v32, s60                                // 00000000986C: D1340020 00007920
	v_mul_i32_i24_e64 v33, s46, 16                             // 000000009874: D1060021 0001202E
	v_add_u32_e32 v32, v32, v33                                // 00000000987C: 68404320
	v_cmp_lt_u32_e64 s[60:61], v32, s64                        // 000000009880: D0C9003C 00008120
	s_nop 1                                                    // 000000009888: BF800001
	v_cndmask_b32_e64 v40, v127, v40, s[60:61]                 // 00000000988C: D1000028 00F2517F
	v_cndmask_b32_e64 v41, v127, v41, s[60:61]                 // 000000009894: D1000029 00F2537F
	v_cndmask_b32_e64 v42, v127, v42, s[60:61]                 // 00000000989C: D100002A 00F2557F
	v_cndmask_b32_e64 v43, v127, v43, s[60:61]                 // 0000000098A4: D100002B 00F2577F
	s_branch label_1663                                        // 0000000098AC: BF820019

00000000000098b0 <label_164A>:
	v_mov_b32_e32 v40, v127                                    // 0000000098B0: 7E50037F
	v_mov_b32_e32 v41, v127                                    // 0000000098B4: 7E52037F
	v_mov_b32_e32 v42, v127                                    // 0000000098B8: 7E54037F
	v_mov_b32_e32 v43, v127                                    // 0000000098BC: 7E56037F
	s_branch label_1663                                        // 0000000098C0: BF820014

00000000000098c4 <label_164F>:
	s_mov_b32 s60, 0x80                                        // 0000000098C4: BEBC00FF 00000080
	v_and_b32_e32 v32, 15, v0                                  // 0000000098CC: 2640008F
	v_add_u32_e64 v32, v32, s60                                // 0000000098D0: D1340020 00007920
	v_mul_i32_i24_e64 v33, s46, 16                             // 0000000098D8: D1060021 0001202E
	v_add_u32_e32 v32, v32, v33                                // 0000000098E0: 68404320
	v_cmp_lt_u32_e64 s[60:61], v32, s64                        // 0000000098E4: D0C9003C 00008120
	s_nop 1                                                    // 0000000098EC: BF800001
	v_cndmask_b32_e64 v44, v127, v44, s[60:61]                 // 0000000098F0: D100002C 00F2597F
	v_cndmask_b32_e64 v45, v127, v45, s[60:61]                 // 0000000098F8: D100002D 00F25B7F
	v_cndmask_b32_e64 v46, v127, v46, s[60:61]                 // 000000009900: D100002E 00F25D7F
	v_cndmask_b32_e64 v47, v127, v47, s[60:61]                 // 000000009908: D100002F 00F25F7F
	s_branch label_1668                                        // 000000009910: BF820005

0000000000009914 <label_1663>:
	v_mov_b32_e32 v44, v127                                    // 000000009914: 7E58037F
	v_mov_b32_e32 v45, v127                                    // 000000009918: 7E5A037F
	v_mov_b32_e32 v46, v127                                    // 00000000991C: 7E5C037F
	v_mov_b32_e32 v47, v127                                    // 000000009920: 7E5E037F
	s_branch label_1668                                        // 000000009924: BF820000

0000000000009928 <label_1668>:
	s_addk_i32 s74, 0x1                                        // 000000009928: B74A0001
	s_waitcnt lgkmcnt(8)                                       // 00000000992C: BF8CC87F
	v_mfma_f32_16x16x32_bf16 v[60:63], v[72:75], a[64:67], 0   // 000000009930: D3B5003C 12028148
	v_exp_f32_e32 v36, v36                                     // 000000009938: 7E484124
	v_exp_f32_e32 v37, v37                                     // 00000000993C: 7E4A4125
	v_mfma_f32_16x16x32_bf16 v[60:63], v[76:79], a[68:71], v[60:63]// 000000009940: D3B5003C 14F2894C
	v_exp_f32_e32 v38, v38                                     // 000000009948: 7E4C4126
	v_exp_f32_e32 v39, v39                                     // 00000000994C: 7E4E4127
	v_mfma_f32_16x16x32_bf16 v[60:63], v[80:83], a[72:75], v[60:63]// 000000009950: D3B5003C 14F29150
	v_fma_f32 v44, v44, s57, -v104                             // 000000009958: D1CB002C 85A0732C
	v_fma_f32 v45, v45, s57, -v105                             // 000000009960: D1CB002D 85A4732D
	v_exp_f32_e32 v40, v40                                     // 000000009968: 7E504128
	v_exp_f32_e32 v41, v41                                     // 00000000996C: 7E524129
	buffer_atomic_add_f32 v110, v9, s[32:35], 0 offen          // 000000009970: E1341000 80086E09
	v_mfma_f32_16x16x32_bf16 v[60:63], v[84:87], a[76:79], v[60:63]// 000000009978: D3B5003C 14F29954
	ds_read_b64_tr_b16 v[224:225], v13 offset:12288            // 000000009980: D9C63000 E000000D
	ds_read_b64_tr_b16 v[226:227], v13 offset:12544            // 000000009988: D9C63100 E200000D
	ds_read_b64_tr_b16 v[228:229], v13 offset:13312            // 000000009990: D9C63400 E400000D
	ds_read_b64_tr_b16 v[230:231], v13 offset:13568            // 000000009998: D9C63500 E600000D
	v_mfma_f32_16x16x32_bf16 v[64:67], v[72:75], a[80:83], 0   // 0000000099A0: D3B50040 1202A148
	v_fma_f32 v46, v46, s57, -v106                             // 0000000099A8: D1CB002E 85A8732E
	v_fma_f32 v47, v47, s57, -v107                             // 0000000099B0: D1CB002F 85AC732F
	v_exp_f32_e32 v42, v42                                     // 0000000099B8: 7E54412A
	v_exp_f32_e32 v43, v43                                     // 0000000099BC: 7E56412B
	v_mfma_f32_16x16x32_bf16 v[64:67], v[76:79], a[84:87], v[64:67]// 0000000099C0: D3B50040 1502A94C
	ds_read_b64_tr_b16 v[232:233], v13 offset:14336            // 0000000099C8: D9C63800 E800000D
	ds_read_b64_tr_b16 v[234:235], v13 offset:14592            // 0000000099D0: D9C63900 EA00000D
	ds_read_b64_tr_b16 v[236:237], v13 offset:15360            // 0000000099D8: D9C63C00 EC00000D
	ds_read_b64_tr_b16 v[238:239], v13 offset:15616            // 0000000099E0: D9C63D00 EE00000D
	v_mfma_f32_16x16x32_bf16 v[64:67], v[80:83], a[88:91], v[64:67]// 0000000099E8: D3B50040 1502B150
	v_exp_f32_e32 v44, v44                                     // 0000000099F0: 7E58412C
	v_exp_f32_e32 v45, v45                                     // 0000000099F4: 7E5A412D
	v_mfma_f32_16x16x32_bf16 v[64:67], v[84:87], a[92:95], v[64:67]// 0000000099F8: D3B50040 1502B954
	v_cvt_pk_bf16_f32 v120, v36, v37                           // 000000009A00: D2680078 00024B24
	v_cvt_pk_bf16_f32 v121, v38, v39                           // 000000009A08: D2680079 00024F26
	v_cvt_pk_bf16_f32 v122, v40, v41                           // 000000009A10: D268007A 00025328
	v_cvt_pk_bf16_f32 v123, v42, v43                           // 000000009A18: D268007B 0002572A
	v_mfma_f32_16x16x32_bf16 v[68:71], v[72:75], a[96:99], 0   // 000000009A20: D3B50044 1202C148
	v_exp_f32_e32 v46, v46                                     // 000000009A28: 7E5C412E
	v_exp_f32_e32 v47, v47                                     // 000000009A2C: 7E5E412F
	v_mfma_f32_16x16x32_bf16 v[68:71], v[76:79], a[100:103], v[68:71]// 000000009A30: D3B50044 1512C94C
	v_permlane16_swap_b32_e32 v120, v122                       // 000000009A38: 7EF0B37A
	v_permlane16_swap_b32_e32 v121, v123                       // 000000009A3C: 7EF2B37B
	v_mfma_f32_16x16x32_bf16 v[68:71], v[80:83], a[104:107], v[68:71]// 000000009A40: D3B50044 1512D150
	v_cvt_pk_bf16_f32 v124, v44, v45                           // 000000009A48: D268007C 00025B2C
	v_cvt_pk_bf16_f32 v125, v46, v47                           // 000000009A50: D268007D 00025F2E
	buffer_atomic_add_f32 v111, v10, s[32:35], 0 offen         // 000000009A58: E1341000 80086F0A
	v_mfma_f32_16x16x32_bf16 v[68:71], v[84:87], a[108:111], v[68:71]// 000000009A60: D3B50044 1512D954
	ds_read_b64_tr_b16 v[240:241], v13 offset:16384            // 000000009A68: D9C64000 F000000D
	ds_read_b64_tr_b16 v[242:243], v13 offset:16640            // 000000009A70: D9C64100 F200000D
	ds_read_b64_tr_b16 v[244:245], v13 offset:17408            // 000000009A78: D9C64400 F400000D
	ds_read_b64_tr_b16 v[246:247], v13 offset:17664            // 000000009A80: D9C64500 F600000D
	s_waitcnt lgkmcnt(12)                                      // 000000009A88: BF8CCC7F
	v_mfma_f32_32x32x16_bf16 v[128:143], v[88:91], v[120:123], v[128:143]// 000000009A8C: D3B70080 0602F158
	v_subrev_f32_dpp v60, v126, v60 quad_perm:[0,0,0,0] row_mask:0xf bank_mask:0xf// 000000009A94: 067878FA FF00007E
	v_subrev_f32_dpp v61, v126, v61 quad_perm:[1,1,1,1] row_mask:0xf bank_mask:0xf// 000000009A9C: 067A7AFA FF00557E
	v_subrev_f32_dpp v62, v126, v62 quad_perm:[2,2,2,2] row_mask:0xf bank_mask:0xf// 000000009AA4: 067C7CFA FF00AA7E
	v_subrev_f32_dpp v63, v126, v63 quad_perm:[3,3,3,3] row_mask:0xf bank_mask:0xf// 000000009AAC: 067E7EFA FF00FF7E
	v_subrev_f32_dpp v64, v126, v64 quad_perm:[0,0,0,0] row_mask:0xf bank_mask:0xf// 000000009AB4: 068080FA FF00007E
	v_subrev_f32_dpp v65, v126, v65 quad_perm:[1,1,1,1] row_mask:0xf bank_mask:0xf// 000000009ABC: 068282FA FF00557E
	v_subrev_f32_dpp v66, v126, v66 quad_perm:[2,2,2,2] row_mask:0xf bank_mask:0xf// 000000009AC4: 068484FA FF00AA7E
	v_subrev_f32_dpp v67, v126, v67 quad_perm:[3,3,3,3] row_mask:0xf bank_mask:0xf// 000000009ACC: 068686FA FF00FF7E
	v_mul_f32_e32 v60, v36, v60                                // 000000009AD4: 0A787924
	v_mul_f32_e32 v61, v37, v61                                // 000000009AD8: 0A7A7B25
	v_mul_f32_e32 v62, v38, v62                                // 000000009ADC: 0A7C7D26
	v_mul_f32_e32 v63, v39, v63                                // 000000009AE0: 0A7E7F27
	v_mfma_f32_32x32x16_bf16 v[144:159], v[92:95], v[120:123], v[144:159]// 000000009AE4: D3B70090 0642F15C
	ds_read_b64_tr_b16 a[0:1], v19                             // 000000009AEC: DBC60000 00000013
	ds_read_b64_tr_b16 a[2:3], v19 offset:256                  // 000000009AF4: DBC60100 02000013
	ds_read_b64_tr_b16 a[4:5], v19 offset:12288                // 000000009AFC: DBC63000 04000013
	ds_read_b64_tr_b16 a[6:7], v19 offset:12544                // 000000009B04: DBC63100 06000013
	ds_read_b64_tr_b16 a[8:9], v19 offset:24576                // 000000009B0C: DBC66000 08000013
	buffer_atomic_add_f32 v112, v7, s[32:35], 0 offen offset:64// 000000009B14: E1341040 80087007
	v_mfma_f32_32x32x16_bf16 v[160:175], v[96:99], v[120:123], v[160:175]// 000000009B1C: D3B700A0 0682F160
	v_mul_f32_e32 v64, v40, v64                                // 000000009B24: 0A808128
	v_mul_f32_e32 v65, v41, v65                                // 000000009B28: 0A828329
	v_mul_f32_e32 v66, v42, v66                                // 000000009B2C: 0A84852A
	v_mul_f32_e32 v67, v43, v67                                // 000000009B30: 0A86872B
	v_permlane16_swap_b32_e32 v88, v90                         // 000000009B34: 7EB0B35A
	v_permlane16_swap_b32_e32 v89, v91                         // 000000009B38: 7EB2B35B
	v_cvt_pk_bf16_f32 v60, v60, v61                            // 000000009B3C: D268003C 00027B3C
	v_cvt_pk_bf16_f32 v61, v62, v63                            // 000000009B44: D268003D 00027F3E
	v_cvt_pk_bf16_f32 v62, v64, v65                            // 000000009B4C: D268003E 00028340
	v_cvt_pk_bf16_f32 v63, v66, v67                            // 000000009B54: D268003F 00028742
	v_permlane16_swap_b32_e32 v92, v94                         // 000000009B5C: 7EB8B35E
	v_permlane16_swap_b32_e32 v93, v95                         // 000000009B60: 7EBAB35F
	v_mfma_f32_32x32x16_bf16 v[176:191], v[100:103], v[120:123], v[176:191]// 000000009B64: D3B700B0 06C2F164
	ds_read_b64_tr_b16 a[10:11], v19 offset:24832              // 000000009B6C: DBC66100 0A000013
	ds_read_b64_tr_b16 a[12:13], v19 offset:36864              // 000000009B74: DBC69000 0C000013
	ds_read_b64_tr_b16 a[14:15], v19 offset:37120              // 000000009B7C: DBC69100 0E000013
	ds_read_b64_tr_b16 a[16:17], v19 offset:49152              // 000000009B84: DBC6C000 10000013
	ds_read_b64_tr_b16 a[18:19], v19 offset:49408              // 000000009B8C: DBC6C100 12000013
	ds_read_b32 v104, v16 offset:37632                         // 000000009B94: D86C9300 68000010
	v_mfma_f32_16x16x16_bf16 v[192:195], v[88:89], v[124:125], v[192:195]// 000000009B9C: D3E100C0 0702F958
	v_permlane16_swap_b32_e32 v96, v98                         // 000000009BA4: 7EC0B362
	v_permlane16_swap_b32_e32 v97, v99                         // 000000009BA8: 7EC2B363
	v_subrev_f32_dpp v68, v126, v68 quad_perm:[0,0,0,0] row_mask:0xf bank_mask:0xf// 000000009BAC: 068888FA FF00007E
	v_subrev_f32_dpp v69, v126, v69 quad_perm:[1,1,1,1] row_mask:0xf bank_mask:0xf// 000000009BB4: 068A8AFA FF00557E
	v_mfma_f32_16x16x16_bf16 v[196:199], v[90:91], v[124:125], v[196:199]// 000000009BBC: D3E100C4 0712F95A
	buffer_atomic_add_f32 v113, v8, s[32:35], 0 offen offset:64// 000000009BC4: E1341040 80087108
	ds_write_b64 v15, v[60:61] offset:30720                    // 000000009BCC: D89A7800 00003C0F
	ds_write_b64 v15, v[62:63] offset:33024                    // 000000009BD4: D89A8100 00003E0F
	v_mfma_f32_16x16x16_bf16 v[200:203], v[92:93], v[124:125], v[200:203]// 000000009BDC: D3E100C8 0722F95C
	v_permlane16_swap_b32_e32 v100, v102                       // 000000009BE4: 7EC8B366
	v_permlane16_swap_b32_e32 v101, v103                       // 000000009BE8: 7ECAB367
	v_subrev_f32_dpp v70, v126, v70 quad_perm:[2,2,2,2] row_mask:0xf bank_mask:0xf// 000000009BEC: 068C8CFA FF00AA7E
	v_subrev_f32_dpp v71, v126, v71 quad_perm:[3,3,3,3] row_mask:0xf bank_mask:0xf// 000000009BF4: 068E8EFA FF00FF7E
	v_mfma_f32_16x16x16_bf16 v[204:207], v[94:95], v[124:125], v[204:207]// 000000009BFC: D3E100CC 0732F95E
	v_permlane16_swap_b32_e32 v60, v62                         // 000000009C04: 7E78B33E
	v_permlane16_swap_b32_e32 v61, v63                         // 000000009C08: 7E7AB33F
	v_mfma_f32_16x16x16_bf16 v[208:211], v[96:97], v[124:125], v[208:211]// 000000009C0C: D3E100D0 0742F960
	v_mul_f32_e32 v68, v44, v68                                // 000000009C14: 0A88892C
	v_mul_f32_e32 v69, v45, v69                                // 000000009C18: 0A8A8B2D
	v_mul_f32_e32 v70, v46, v70                                // 000000009C1C: 0A8C8D2E
	v_mfma_f32_16x16x16_bf16 v[212:215], v[98:99], v[124:125], v[212:215]// 000000009C20: D3E100D4 0752F962
	ds_read_b64_tr_b16 a[20:21], v19 offset:61440              // 000000009C28: DBC6F000 14000013
	ds_read_b64_tr_b16 a[22:23], v19 offset:61696              // 000000009C30: DBC6F100 16000013
	ds_read_b64_tr_b16 a[24:25], v20                           // 000000009C38: DBC60000 18000014
	v_mfma_f32_16x16x16_bf16 v[216:219], v[100:101], v[124:125], v[216:219]// 000000009C40: D3E100D8 0762F964
	v_mul_f32_e32 v71, v47, v71                                // 000000009C48: 0A8E8F2F
	v_cvt_pk_bf16_f32 v64, v68, v69                            // 000000009C4C: D2680040 00028B44
	v_cvt_pk_bf16_f32 v65, v70, v71                            // 000000009C54: D2680041 00028F46
	v_mfma_f32_16x16x16_bf16 v[220:223], v[102:103], v[124:125], v[220:223]// 000000009C5C: D3E100DC 0772F966
	ds_read_b32 v126, v16 offset:37888                         // 000000009C64: D86C9400 7E000010
	ds_read_b64_tr_b16 a[26:27], v20 offset:256                // 000000009C6C: DBC60100 1A000014
	ds_read_b64_tr_b16 a[28:29], v20 offset:12288              // 000000009C74: DBC63000 1C000014
	s_waitcnt lgkmcnt(8)                                       // 000000009C7C: BF8CC87F
	v_mfma_f32_32x32x16_bf16 a[112:127], v[224:227], v[60:63], a[112:127]// 000000009C80: D3B78070 05C279E0
	v_mul_f32_e32 v104, s48, v104                              // 000000009C88: 0AD0D030
	buffer_atomic_add_f32 v114, v9, s[32:35], 0 offen offset:64// 000000009C8C: E1341040 80087209
	v_mfma_f32_32x32x16_bf16 a[128:143], v[228:231], v[60:63], a[128:143]// 000000009C94: D3B78080 060279E4
	ds_read_b64_tr_b16 a[30:31], v20 offset:12544              // 000000009C9C: DBC63100 1E000014
	ds_write_b64 v15, v[64:65] offset:35328                    // 000000009CA4: D89A8A00 0000400F
	ds_read_b64_tr_b16 a[32:33], v20 offset:24576              // 000000009CAC: DBC66000 20000014
	ds_read_b64_tr_b16 a[34:35], v20 offset:24832              // 000000009CB4: DBC66100 22000014
	v_mfma_f32_32x32x16_bf16 a[144:159], v[232:235], v[60:63], a[144:159]// 000000009CBC: D3B78090 064279E8
	.long 0x7fc0b3e2                                           // 000000009CC4: 7FC0B3E2
	.long 0x7fc2b3e3                                           // 000000009CC8: 7FC2B3E3
	buffer_atomic_add_f32 v115, v10, s[32:35], 0 offen offset:64// 000000009CCC: E1341040 8008730A
	v_mfma_f32_32x32x16_bf16 a[160:175], v[236:239], v[60:63], a[160:175]// 000000009CD4: D3B780A0 068279EC
	ds_read_b64_tr_b16 a[36:37], v20 offset:36864              // 000000009CDC: DBC69000 24000014
	ds_read_b64_tr_b16 a[38:39], v20 offset:37120              // 000000009CE4: DBC69100 26000014
	ds_read_b64_tr_b16 a[40:41], v20 offset:49152              // 000000009CEC: DBC6C000 28000014
	ds_read_b64_tr_b16 a[42:43], v20 offset:49408              // 000000009CF4: DBC6C100 2A000014
	ds_read_b64_tr_b16 a[44:45], v20 offset:61440              // 000000009CFC: DBC6F000 2C000014
	ds_read_b64_tr_b16 a[46:47], v20 offset:61696              // 000000009D04: DBC6F100 2E000014
	s_waitcnt lgkmcnt(8)                                       // 000000009D0C: BF8CC87F
	s_barrier                                                  // 000000009D10: BF8A0000
	v_mfma_f32_32x32x16_bf16 a[176:191], v[240:243], v[60:63], a[176:191]// 000000009D14: D3B780B0 06C279F0
	.long 0x7fc8b3e6                                           // 000000009D1C: 7FC8B3E6
	.long 0x7fcab3e7                                           // 000000009D20: 7FCAB3E7
	v_mov_b32_dpp v107, v104 quad_perm:[3,3,3,3] row_mask:0xf bank_mask:0xf// 000000009D24: 7ED602FA FF00FF68
	v_mov_b32_dpp v106, v104 quad_perm:[2,2,2,2] row_mask:0xf bank_mask:0xf// 000000009D2C: 7ED402FA FF00AA68
	buffer_atomic_add_f32 v116, v7, s[32:35], 0 offen offset:128// 000000009D34: E1341080 80087407
	v_mfma_f32_32x32x16_bf16 a[192:207], v[244:247], v[60:63], a[192:207]// 000000009D3C: D3B780C0 070279F4
	ds_read_b64_tr_b16 v[36:37], v14 offset:30720              // 000000009D44: D9C67800 2400000E
	ds_read_b64_tr_b16 v[38:39], v14 offset:30752              // 000000009D4C: D9C67820 2600000E
	ds_read_b64_tr_b16 v[40:41], v14 offset:31872              // 000000009D54: D9C67C80 2800000E
	ds_read_b64_tr_b16 v[42:43], v14 offset:31904              // 000000009D5C: D9C67CA0 2A00000E
	ds_read_b64_tr_b16 v[44:45], v14 offset:33024              // 000000009D64: D9C68100 2C00000E
	ds_read_b64_tr_b16 v[46:47], v14 offset:33056              // 000000009D6C: D9C68120 2E00000E
	v_mfma_f32_16x16x16_bf16 a[208:211], v[224:225], v[64:65], a[208:211]// 000000009D74: D3E180D0 074281E0
	.long 0x7fd0b3ea                                           // 000000009D7C: 7FD0B3EA
	.long 0x7fd2b3eb                                           // 000000009D80: 7FD2B3EB
	v_mfma_f32_16x16x16_bf16 a[212:215], v[226:227], v[64:65], a[212:215]// 000000009D84: D3E180D4 075281E2
	ds_read_b64_tr_b16 v[48:49], v14 offset:34176              // 000000009D8C: D9C68580 3000000E
	ds_read_b64_tr_b16 v[50:51], v14 offset:34208              // 000000009D94: D9C685A0 3200000E
	ds_read_b64_tr_b16 v[52:53], v14 offset:35328              // 000000009D9C: D9C68A00 3400000E
	v_mfma_f32_16x16x16_bf16 a[216:219], v[228:229], v[64:65], a[216:219]// 000000009DA4: D3E180D8 076281E4
	v_permlane16_swap_b32_e32 v236, v238                       // 000000009DAC: 7FD8B3EE
	v_permlane16_swap_b32_e32 v237, v239                       // 000000009DB0: 7FDAB3EF
	buffer_atomic_add_f32 v117, v8, s[32:35], 0 offen offset:128// 000000009DB4: E1341080 80087508
	v_mfma_f32_16x16x16_bf16 a[220:223], v[230:231], v[64:65], a[220:223]// 000000009DBC: D3E180DC 077281E6
	ds_read_b64_tr_b16 v[54:55], v14 offset:35360              // 000000009DC4: D9C68A20 3600000E
	ds_read_b64_tr_b16 v[56:57], v14 offset:36480              // 000000009DCC: D9C68E80 3800000E
	ds_read_b64_tr_b16 v[58:59], v14 offset:36512              // 000000009DD4: D9C68EA0 3A00000E
	v_mfma_f32_16x16x16_bf16 a[224:227], v[232:233], v[64:65], a[224:227]// 000000009DDC: D3E180E0 078281E8
	v_permlane16_swap_b32_e32 v240, v242                       // 000000009DE4: 7FE0B3F2
	v_permlane16_swap_b32_e32 v241, v243                       // 000000009DE8: 7FE2B3F3
	v_mfma_f32_16x16x16_bf16 a[228:231], v[234:235], v[64:65], a[228:231]// 000000009DEC: D3E180E4 079281EA
	ds_read_b64_tr_b16 a[48:49], v21                           // 000000009DF4: DBC60000 30000015
	ds_read_b64_tr_b16 a[50:51], v21 offset:256                // 000000009DFC: DBC60100 32000015
	ds_read_b64_tr_b16 a[52:53], v21 offset:12288              // 000000009E04: DBC63000 34000015
	v_mfma_f32_16x16x16_bf16 a[232:235], v[236:237], v[64:65], a[232:235]// 000000009E0C: D3E180E8 07A281EC
	v_permlane16_swap_b32_e32 v244, v246                       // 000000009E14: 7FE8B3F6
	v_permlane16_swap_b32_e32 v245, v247                       // 000000009E18: 7FEAB3F7
	v_mfma_f32_16x16x16_bf16 a[236:239], v[238:239], v[64:65], a[236:239]// 000000009E1C: D3E180EC 07B281EE
	ds_read_b64_tr_b16 a[54:55], v21 offset:12544              // 000000009E24: DBC63100 36000015
	ds_read_b64_tr_b16 a[56:57], v21 offset:24576              // 000000009E2C: DBC66000 38000015
	ds_read_b64_tr_b16 a[58:59], v21 offset:24832              // 000000009E34: DBC66100 3A000015
	v_mfma_f32_16x16x16_bf16 a[240:243], v[240:241], v[64:65], a[240:243]// 000000009E3C: D3E180F0 07C281F0
	v_mov_b32_dpp v105, v104 quad_perm:[1,1,1,1] row_mask:0xf bank_mask:0xf// 000000009E44: 7ED202FA FF005568
	buffer_atomic_add_f32 v118, v9, s[32:35], 0 offen offset:128// 000000009E4C: E1341080 80087609
	v_mfma_f32_16x16x16_bf16 a[244:247], v[242:243], v[64:65], a[244:247]// 000000009E54: D3E180F4 07D281F2
	ds_read_b64_tr_b16 a[60:61], v21 offset:36864              // 000000009E5C: DBC69000 3C000015
	ds_read_b64_tr_b16 a[62:63], v21 offset:37120              // 000000009E64: DBC69100 3E000015
	ds_read_b64_tr_b16 v[248:249], v21 offset:49152            // 000000009E6C: D9C6C000 F8000015
	v_mfma_f32_16x16x16_bf16 a[248:251], v[244:245], v[64:65], a[248:251]// 000000009E74: D3E180F8 07E281F4
	v_mov_b32_dpp v104, v104 quad_perm:[0,0,0,0] row_mask:0xf bank_mask:0xf// 000000009E7C: 7ED002FA FF000068
	buffer_atomic_add_f32 v119, v10, s[32:35], 0 offen offset:128// 000000009E84: E1341080 8008770A
	v_mfma_f32_16x16x16_bf16 a[252:255], v[246:247], v[64:65], a[252:255]// 000000009E8C: D3E180FC 07F281F6
	ds_read_b64_tr_b16 v[250:251], v21 offset:49408            // 000000009E94: D9C6C100 FA000015
	ds_read_b64_tr_b16 v[252:253], v21 offset:61440            // 000000009E9C: D9C6F000 FC000015
	ds_read_b64_tr_b16 v[254:255], v21 offset:61696            // 000000009EA4: D9C6F100 FE000015
	s_waitcnt vmcnt(12) lgkmcnt(6)                             // 000000009EAC: BF8C067C
	s_barrier                                                  // 000000009EB0: BF8A0000
	v_mfma_f32_16x16x32_bf16 v[108:111], v[36:39], a[0:3], 0   // 000000009EB4: D3B5006C 12020124
	s_mov_b32 m0, s87                                          // 000000009EBC: BEFC0057
	buffer_load_dwordx4 v1, s[8:11], 0 idxen lds               // 000000009EC0: E05D2000 80020001
	v_mfma_f32_16x16x32_bf16 v[108:111], v[40:43], a[4:7], v[108:111]// 000000009EC8: D3B5006C 15B20928
	ds_read_b128 v[224:227], v12                               // 000000009ED0: D9FE0000 E000000C
	ds_read_b128 v[228:231], v12 offset:1024                   // 000000009ED8: D9FE0400 E400000C
	v_mfma_f32_16x16x32_bf16 v[108:111], v[44:47], a[8:11], v[108:111]// 000000009EE0: D3B5006C 15B2112C
	s_mov_b32 m0, s88                                          // 000000009EE8: BEFC0058
	buffer_load_dword v2, s[8:11], 0 idxen lds                 // 000000009EEC: E0512000 80020002
	v_mfma_f32_16x16x32_bf16 v[108:111], v[48:51], a[12:15], v[108:111]// 000000009EF4: D3B5006C 15B21930
	ds_read_b128 v[232:235], v12 offset:2048                   // 000000009EFC: D9FE0800 E800000C
	ds_read_b128 v[236:239], v12 offset:3072                   // 000000009F04: D9FE0C00 EC00000C
	v_mfma_f32_16x16x32_bf16 v[108:111], v[52:55], a[16:19], v[108:111]// 000000009F0C: D3B5006C 15B22134
	s_mov_b32 m0, s89                                          // 000000009F14: BEFC0059
	buffer_load_dword v3, s[8:11], 0 idxen lds                 // 000000009F18: E0512000 80020003
	v_mfma_f32_16x16x32_bf16 v[108:111], v[56:59], a[20:23], v[108:111]// 000000009F20: D3B5006C 15B22938
	ds_read_b128 v[240:243], v12 offset:4096                   // 000000009F28: D9FE1000 F000000C
	ds_read_b128 v[244:247], v12 offset:5120                   // 000000009F30: D9FE1400 F400000C
	v_mfma_f32_16x16x32_bf16 v[112:115], v[36:39], a[24:27], 0 // 000000009F38: D3B50070 12023124
	s_mov_b32 m0, s92                                          // 000000009F40: BEFC005C
	buffer_load_dwordx4 v4, s[20:23], 0 idxen lds              // 000000009F44: E05D2000 80050004
	v_mfma_f32_16x16x32_bf16 v[112:115], v[40:43], a[28:31], v[112:115]// 000000009F4C: D3B50070 15C23928
	ds_read_b128 a[0:3], v17                                   // 000000009F54: DBFE0000 00000011
	ds_read_b128 a[4:7], v17 offset:1024                       // 000000009F5C: DBFE0400 04000011
	v_mfma_f32_16x16x32_bf16 v[112:115], v[44:47], a[32:35], v[112:115]// 000000009F64: D3B50070 15C2412C
	v_mul_f32_e32 v108, s47, v108                              // 000000009F6C: 0AD8D82F
	v_mul_f32_e32 v109, s47, v109                              // 000000009F70: 0ADADA2F
	s_mov_b32 m0, s80                                          // 000000009F74: BEFC0050
	buffer_load_dword v11, s[24:27], 0 idxen lds               // 000000009F78: E0512000 8006000B
	v_mfma_f32_16x16x32_bf16 v[112:115], v[48:51], a[36:39], v[112:115]// 000000009F80: D3B50070 15C24930
	ds_read_b128 a[8:11], v17 offset:2048                      // 000000009F88: DBFE0800 08000011
	ds_read_b128 a[12:15], v17 offset:3072                     // 000000009F90: DBFE0C00 0C000011
	v_mfma_f32_16x16x32_bf16 v[112:115], v[52:55], a[40:43], v[112:115]// 000000009F98: D3B50070 15C25134
	s_add_u32 s60, 64, s59                                     // 000000009FA0: 803C3BC0
	s_cmp_lt_u32 s60, s58                                      // 000000009FA4: BF0A3A3C
	s_cselect_b32 s68, s68, 0                                  // 000000009FA8: 85448044
	s_cselect_b32 s101, s101, 0                                // 000000009FAC: 85658065
	s_cselect_b32 s69, s69, 0                                  // 000000009FB0: 85458045
	v_mfma_f32_16x16x32_bf16 v[112:115], v[56:59], a[44:47], v[112:115]// 000000009FB4: D3B50070 15C25938
	ds_read_b128 a[16:19], v17 offset:4096                     // 000000009FBC: DBFE1000 10000011
	ds_read_b128 a[20:23], v17 offset:5120                     // 000000009FC4: DBFE1400 14000011
	v_mfma_f32_16x16x32_bf16 v[116:119], v[36:39], a[48:51], 0 // 000000009FCC: D3B50074 12026124
	v_add_u32_e32 v1, s68, v1                                  // 000000009FD4: 68020244
	v_add_u32_e32 v2, s68, v2                                  // 000000009FD8: 68040444
	v_add_u32_e32 v3, s68, v3                                  // 000000009FDC: 68060644
	v_add_u32_e32 v4, s101, v4                                 // 000000009FE0: 68080865
	v_add_u32_e32 v11, s69, v11                                // 000000009FE4: 68161645
	v_mfma_f32_16x16x32_bf16 v[116:119], v[40:43], a[52:55], v[116:119]// 000000009FE8: D3B50074 15D26928
	ds_read_b128 a[24:27], v17 offset:24576                    // 000000009FF0: DBFE6000 18000011
	ds_read_b128 a[28:31], v17 offset:25600                    // 000000009FF8: DBFE6400 1C000011
	s_waitcnt lgkmcnt(14)                                      // 00000000A000: BF8CCE7F
	v_mfma_f32_16x16x32_bf16 v[116:119], v[44:47], a[56:59], v[116:119]// 00000000A004: D3B50074 15D2712C
	v_mul_f32_e32 v110, s47, v110                              // 00000000A00C: 0ADCDC2F
	v_mul_f32_e32 v111, s47, v111                              // 00000000A010: 0ADEDE2F
	s_cmp_ge_u32 s59, s73                                      // 00000000A014: BF09493B
	s_cselect_b32 s66, s67, s66                                // 00000000A018: 85424243
	v_mfma_f32_16x16x32_bf16 v[116:119], v[48:51], a[60:63], v[116:119]// 00000000A01C: D3B50074 15D27930
	ds_read_b128 a[32:35], v17 offset:26624                    // 00000000A024: DBFE6800 20000011
	ds_read_b128 a[36:39], v17 offset:27648                    // 00000000A02C: DBFE6C00 24000011
	v_mfma_f32_16x16x32_bf16 v[116:119], v[52:55], v[248:251], v[116:119]// 00000000A034: D3B50074 05D3F134
	s_addk_i32 s59, 0x10                                       // 00000000A03C: B73B0010
	v_mul_f32_e32 v112, s47, v112                              // 00000000A040: 0AE0E02F
	v_mul_f32_e32 v113, s47, v113                              // 00000000A044: 0AE2E22F
	s_cmp_lt_i32 s59, s58                                      // 00000000A048: BF043A3B
	v_mfma_f32_16x16x32_bf16 v[116:119], v[56:59], v[252:255], v[116:119]// 00000000A04C: D3B50074 05D3F938
	ds_read_b128 a[40:43], v17 offset:28672                    // 00000000A054: DBFE7000 28000011
	ds_read_b128 a[44:47], v17 offset:29696                    // 00000000A05C: DBFE7400 2C000011
	s_cbranch_scc0 label_0F20                                  // 00000000A064: BF84F6F7
	s_branch label_0F23                                        // 00000000A068: BF82F6F9

000000000000a06c <label_1839>:
	v_lshlrev_b32_e32 v24, 1, v0                               // 00000000A06C: 24300081
	s_mul_i32 s60, s46, 0xcc0                                  // 00000000A070: 923CFF2E 00000CC0
	v_add_u32_e32 v24, s60, v24                                // 00000000A078: 6830303C
	v_lshlrev_b32_e32 v24, 2, v24                              // 00000000A07C: 24303082
	v_lshlrev_b32_e32 v25, 1, v0                               // 00000000A080: 24320081
	v_lshrrev_b32_e32 v32, 5, v0                               // 00000000A084: 20400085
	v_mul_i32_i24_e32 v32, 8, v32                              // 00000000A088: 0C404088
	v_add_u32_e32 v25, v32, v25                                // 00000000A08C: 68323320
	s_mul_i32 s60, s46, 0x6c0                                  // 00000000A090: 923CFF2E 000006C0
	v_add_u32_e32 v25, s60, v25                                // 00000000A098: 6832323C
	v_lshlrev_b32_e32 v25, 2, v25                              // 00000000A09C: 24323282
	v_mul_f32_e32 v114, s47, v114                              // 00000000A0A0: 0AE4E42F
	v_mul_f32_e32 v115, s47, v115                              // 00000000A0A4: 0AE6E62F
	v_mul_f32_e32 v116, s47, v116                              // 00000000A0A8: 0AE8E82F
	v_mul_f32_e32 v117, s47, v117                              // 00000000A0AC: 0AEAEA2F
	v_mul_f32_e32 v118, s47, v118                              // 00000000A0B0: 0AECEC2F
	v_mul_f32_e32 v119, s47, v119                              // 00000000A0B4: 0AEEEE2F
	v_add_u32_e32 v7, s66, v7                                  // 00000000A0B8: 680E0E42
	v_add_u32_e32 v8, s66, v8                                  // 00000000A0BC: 68101042
	v_add_u32_e32 v9, s66, v9                                  // 00000000A0C0: 68121242
	v_add_u32_e32 v10, s66, v10                                // 00000000A0C4: 68141442
	buffer_atomic_add_f32 v108, v7, s[32:35], 0 offen          // 00000000A0C8: E1341000 80086C07
	buffer_atomic_add_f32 v109, v8, s[32:35], 0 offen          // 00000000A0D0: E1341000 80086D08
	buffer_atomic_add_f32 v110, v9, s[32:35], 0 offen          // 00000000A0D8: E1341000 80086E09
	buffer_atomic_add_f32 v111, v10, s[32:35], 0 offen         // 00000000A0E0: E1341000 80086F0A
	buffer_atomic_add_f32 v112, v7, s[32:35], 0 offen offset:64// 00000000A0E8: E1341040 80087007
	buffer_atomic_add_f32 v113, v8, s[32:35], 0 offen offset:64// 00000000A0F0: E1341040 80087108
	buffer_atomic_add_f32 v114, v9, s[32:35], 0 offen offset:64// 00000000A0F8: E1341040 80087209
	buffer_atomic_add_f32 v115, v10, s[32:35], 0 offen offset:64// 00000000A100: E1341040 8008730A
	buffer_atomic_add_f32 v116, v7, s[32:35], 0 offen offset:128// 00000000A108: E1341080 80087407
	buffer_atomic_add_f32 v117, v8, s[32:35], 0 offen offset:128// 00000000A110: E1341080 80087508
	buffer_atomic_add_f32 v118, v9, s[32:35], 0 offen offset:128// 00000000A118: E1341080 80087609
	buffer_atomic_add_f32 v119, v10, s[32:35], 0 offen offset:128// 00000000A120: E1341080 8008770A
	v_lshrrev_b32_e32 v32, 3, v0                               // 00000000A128: 20400083
	v_mul_i32_i24_e32 v22, 2, v32                              // 00000000A12C: 0C2C4082
	v_and_b32_e32 v32, 7, v0                                   // 00000000A130: 26400087
	v_mul_i32_i24_e32 v33, 0x88, v32                           // 00000000A134: 0C4240FF 00000088
	v_add_u32_e32 v22, v33, v22                                // 00000000A13C: 682C2D21
	s_mul_i32 s60, s46, 0xcc0                                  // 00000000A140: 923CFF2E 00000CC0
	v_add_u32_e32 v22, s60, v22                                // 00000000A148: 682C2C3C
	v_lshlrev_b32_e32 v22, 2, v22                              // 00000000A14C: 242C2C82
	v_lshrrev_b32_e32 v32, 3, v0                               // 00000000A150: 20400083
	v_mul_i32_i24_e32 v23, 2, v32                              // 00000000A154: 0C2E4082
	v_and_b32_e32 v32, 7, v0                                   // 00000000A158: 26400087
	v_mul_i32_i24_e32 v33, 0x48, v32                           // 00000000A15C: 0C4240FF 00000048
	v_add_u32_e32 v23, v33, v23                                // 00000000A164: 682E2F21
	s_mul_i32 s60, s46, 0x6c0                                  // 00000000A168: 923CFF2E 000006C0
	v_add_u32_e32 v23, s60, v23                                // 00000000A170: 682E2E3C
	v_lshlrev_b32_e32 v23, 2, v23                              // 00000000A174: 242E2E82
	s_waitcnt vmcnt(0) expcnt(0) lgkmcnt(0)                    // 00000000A178: BF8C0000
	s_barrier                                                  // 00000000A17C: BF8A0000
	v_mov_b32_e32 v34, v128                                    // 00000000A180: 7E440380
	v_mov_b32_e32 v35, v129                                    // 00000000A184: 7E460381
	v_cvt_pk_bf16_f32 v128, v34, v35                           // 00000000A188: D2680080 00024722
	v_mov_b32_e32 v34, v130                                    // 00000000A190: 7E440382
	v_mov_b32_e32 v35, v131                                    // 00000000A194: 7E460383
	v_cvt_pk_bf16_f32 v129, v34, v35                           // 00000000A198: D2680081 00024722
	v_mov_b32_e32 v34, v132                                    // 00000000A1A0: 7E440384
	v_mov_b32_e32 v35, v133                                    // 00000000A1A4: 7E460385
	v_cvt_pk_bf16_f32 v130, v34, v35                           // 00000000A1A8: D2680082 00024722
	v_mov_b32_e32 v34, v134                                    // 00000000A1B0: 7E440386
	v_mov_b32_e32 v35, v135                                    // 00000000A1B4: 7E460387
	v_cvt_pk_bf16_f32 v131, v34, v35                           // 00000000A1B8: D2680083 00024722
	v_mov_b32_e32 v34, v136                                    // 00000000A1C0: 7E440388
	v_mov_b32_e32 v35, v137                                    // 00000000A1C4: 7E460389
	v_cvt_pk_bf16_f32 v132, v34, v35                           // 00000000A1C8: D2680084 00024722
	v_mov_b32_e32 v34, v138                                    // 00000000A1D0: 7E44038A
	v_mov_b32_e32 v35, v139                                    // 00000000A1D4: 7E46038B
	v_cvt_pk_bf16_f32 v133, v34, v35                           // 00000000A1D8: D2680085 00024722
	v_mov_b32_e32 v34, v140                                    // 00000000A1E0: 7E44038C
	v_mov_b32_e32 v35, v141                                    // 00000000A1E4: 7E46038D
	v_cvt_pk_bf16_f32 v134, v34, v35                           // 00000000A1E8: D2680086 00024722
	v_mov_b32_e32 v34, v142                                    // 00000000A1F0: 7E44038E
	v_mov_b32_e32 v35, v143                                    // 00000000A1F4: 7E46038F
	v_cvt_pk_bf16_f32 v135, v34, v35                           // 00000000A1F8: D2680087 00024722
	v_mov_b32_e32 v34, v144                                    // 00000000A200: 7E440390
	v_mov_b32_e32 v35, v145                                    // 00000000A204: 7E460391
	v_cvt_pk_bf16_f32 v136, v34, v35                           // 00000000A208: D2680088 00024722
	v_mov_b32_e32 v34, v146                                    // 00000000A210: 7E440392
	v_mov_b32_e32 v35, v147                                    // 00000000A214: 7E460393
	v_cvt_pk_bf16_f32 v137, v34, v35                           // 00000000A218: D2680089 00024722
	v_mov_b32_e32 v34, v148                                    // 00000000A220: 7E440394
	v_mov_b32_e32 v35, v149                                    // 00000000A224: 7E460395
	v_cvt_pk_bf16_f32 v138, v34, v35                           // 00000000A228: D268008A 00024722
	v_mov_b32_e32 v34, v150                                    // 00000000A230: 7E440396
	v_mov_b32_e32 v35, v151                                    // 00000000A234: 7E460397
	v_cvt_pk_bf16_f32 v139, v34, v35                           // 00000000A238: D268008B 00024722
	v_mov_b32_e32 v34, v152                                    // 00000000A240: 7E440398
	v_mov_b32_e32 v35, v153                                    // 00000000A244: 7E460399
	v_cvt_pk_bf16_f32 v140, v34, v35                           // 00000000A248: D268008C 00024722
	v_mov_b32_e32 v34, v154                                    // 00000000A250: 7E44039A
	v_mov_b32_e32 v35, v155                                    // 00000000A254: 7E46039B
	v_cvt_pk_bf16_f32 v141, v34, v35                           // 00000000A258: D268008D 00024722
	v_mov_b32_e32 v34, v156                                    // 00000000A260: 7E44039C
	v_mov_b32_e32 v35, v157                                    // 00000000A264: 7E46039D
	v_cvt_pk_bf16_f32 v142, v34, v35                           // 00000000A268: D268008E 00024722
	v_mov_b32_e32 v34, v158                                    // 00000000A270: 7E44039E
	v_mov_b32_e32 v35, v159                                    // 00000000A274: 7E46039F
	v_cvt_pk_bf16_f32 v143, v34, v35                           // 00000000A278: D268008F 00024722
	v_mov_b32_e32 v34, v160                                    // 00000000A280: 7E4403A0
	v_mov_b32_e32 v35, v161                                    // 00000000A284: 7E4603A1
	v_cvt_pk_bf16_f32 v144, v34, v35                           // 00000000A288: D2680090 00024722
	v_mov_b32_e32 v34, v162                                    // 00000000A290: 7E4403A2
	v_mov_b32_e32 v35, v163                                    // 00000000A294: 7E4603A3
	v_cvt_pk_bf16_f32 v145, v34, v35                           // 00000000A298: D2680091 00024722
	v_mov_b32_e32 v34, v164                                    // 00000000A2A0: 7E4403A4
	v_mov_b32_e32 v35, v165                                    // 00000000A2A4: 7E4603A5
	v_cvt_pk_bf16_f32 v146, v34, v35                           // 00000000A2A8: D2680092 00024722
	v_mov_b32_e32 v34, v166                                    // 00000000A2B0: 7E4403A6
	v_mov_b32_e32 v35, v167                                    // 00000000A2B4: 7E4603A7
	v_cvt_pk_bf16_f32 v147, v34, v35                           // 00000000A2B8: D2680093 00024722
	v_mov_b32_e32 v34, v168                                    // 00000000A2C0: 7E4403A8
	v_mov_b32_e32 v35, v169                                    // 00000000A2C4: 7E4603A9
	v_cvt_pk_bf16_f32 v148, v34, v35                           // 00000000A2C8: D2680094 00024722
	v_mov_b32_e32 v34, v170                                    // 00000000A2D0: 7E4403AA
	v_mov_b32_e32 v35, v171                                    // 00000000A2D4: 7E4603AB
	v_cvt_pk_bf16_f32 v149, v34, v35                           // 00000000A2D8: D2680095 00024722
	v_mov_b32_e32 v34, v172                                    // 00000000A2E0: 7E4403AC
	v_mov_b32_e32 v35, v173                                    // 00000000A2E4: 7E4603AD
	v_cvt_pk_bf16_f32 v150, v34, v35                           // 00000000A2E8: D2680096 00024722
	v_mov_b32_e32 v34, v174                                    // 00000000A2F0: 7E4403AE
	v_mov_b32_e32 v35, v175                                    // 00000000A2F4: 7E4603AF
	v_cvt_pk_bf16_f32 v151, v34, v35                           // 00000000A2F8: D2680097 00024722
	v_mov_b32_e32 v34, v176                                    // 00000000A300: 7E4403B0
	v_mov_b32_e32 v35, v177                                    // 00000000A304: 7E4603B1
	v_cvt_pk_bf16_f32 v152, v34, v35                           // 00000000A308: D2680098 00024722
	v_mov_b32_e32 v34, v178                                    // 00000000A310: 7E4403B2
	v_mov_b32_e32 v35, v179                                    // 00000000A314: 7E4603B3
	v_cvt_pk_bf16_f32 v153, v34, v35                           // 00000000A318: D2680099 00024722
	v_mov_b32_e32 v34, v180                                    // 00000000A320: 7E4403B4
	v_mov_b32_e32 v35, v181                                    // 00000000A324: 7E4603B5
	v_cvt_pk_bf16_f32 v154, v34, v35                           // 00000000A328: D268009A 00024722
	v_mov_b32_e32 v34, v182                                    // 00000000A330: 7E4403B6
	v_mov_b32_e32 v35, v183                                    // 00000000A334: 7E4603B7
	v_cvt_pk_bf16_f32 v155, v34, v35                           // 00000000A338: D268009B 00024722
	v_mov_b32_e32 v34, v184                                    // 00000000A340: 7E4403B8
	v_mov_b32_e32 v35, v185                                    // 00000000A344: 7E4603B9
	v_cvt_pk_bf16_f32 v156, v34, v35                           // 00000000A348: D268009C 00024722
	v_mov_b32_e32 v34, v186                                    // 00000000A350: 7E4403BA
	v_mov_b32_e32 v35, v187                                    // 00000000A354: 7E4603BB
	v_cvt_pk_bf16_f32 v157, v34, v35                           // 00000000A358: D268009D 00024722
	v_mov_b32_e32 v34, v188                                    // 00000000A360: 7E4403BC
	v_mov_b32_e32 v35, v189                                    // 00000000A364: 7E4603BD
	v_cvt_pk_bf16_f32 v158, v34, v35                           // 00000000A368: D268009E 00024722
	v_mov_b32_e32 v34, v190                                    // 00000000A370: 7E4403BE
	v_mov_b32_e32 v35, v191                                    // 00000000A374: 7E4603BF
	v_cvt_pk_bf16_f32 v159, v34, v35                           // 00000000A378: D268009F 00024722
	ds_write_b64 v24, v[128:129]                               // 00000000A380: D89A0000 00008018
	ds_write_b64 v24, v[130:131] offset:544                    // 00000000A388: D89A0220 00008218
	ds_write_b64 v24, v[132:133] offset:1088                   // 00000000A390: D89A0440 00008418
	ds_write_b64 v24, v[134:135] offset:1632                   // 00000000A398: D89A0660 00008618
	ds_write_b64 v24, v[136:137] offset:2176                   // 00000000A3A0: D89A0880 00008818
	ds_write_b64 v24, v[138:139] offset:2720                   // 00000000A3A8: D89A0AA0 00008A18
	ds_write_b64 v24, v[140:141] offset:3264                   // 00000000A3B0: D89A0CC0 00008C18
	ds_write_b64 v24, v[142:143] offset:3808                   // 00000000A3B8: D89A0EE0 00008E18
	ds_write_b64 v24, v[144:145] offset:4352                   // 00000000A3C0: D89A1100 00009018
	ds_write_b64 v24, v[146:147] offset:4896                   // 00000000A3C8: D89A1320 00009218
	ds_write_b64 v24, v[148:149] offset:5440                   // 00000000A3D0: D89A1540 00009418
	ds_write_b64 v24, v[150:151] offset:5984                   // 00000000A3D8: D89A1760 00009618
	ds_write_b64 v24, v[152:153] offset:6528                   // 00000000A3E0: D89A1980 00009818
	ds_write_b64 v24, v[154:155] offset:7072                   // 00000000A3E8: D89A1BA0 00009A18
	ds_write_b64 v24, v[156:157] offset:7616                   // 00000000A3F0: D89A1DC0 00009C18
	ds_write_b64 v24, v[158:159] offset:8160                   // 00000000A3F8: D89A1FE0 00009E18
	s_waitcnt lgkmcnt(0)                                       // 00000000A400: BF8CC07F
	s_barrier                                                  // 00000000A404: BF8A0000
	ds_read_b64 v[128:129], v22                                // 00000000A408: D8EC0000 80000016
	ds_read_b64 v[130:131], v22 offset:256                     // 00000000A410: D8EC0100 82000016
	ds_read_b64 v[132:133], v22 offset:4352                    // 00000000A418: D8EC1100 84000016
	ds_read_b64 v[134:135], v22 offset:4608                    // 00000000A420: D8EC1200 86000016
	ds_read_b64 v[136:137], v22 offset:64                      // 00000000A428: D8EC0040 88000016
	ds_read_b64 v[138:139], v22 offset:320                     // 00000000A430: D8EC0140 8A000016
	ds_read_b64 v[140:141], v22 offset:4416                    // 00000000A438: D8EC1140 8C000016
	ds_read_b64 v[142:143], v22 offset:4672                    // 00000000A440: D8EC1240 8E000016
	ds_read_b64 v[144:145], v22 offset:128                     // 00000000A448: D8EC0080 90000016
	ds_read_b64 v[146:147], v22 offset:384                     // 00000000A450: D8EC0180 92000016
	ds_read_b64 v[148:149], v22 offset:4480                    // 00000000A458: D8EC1180 94000016
	ds_read_b64 v[150:151], v22 offset:4736                    // 00000000A460: D8EC1280 96000016
	ds_read_b64 v[152:153], v22 offset:192                     // 00000000A468: D8EC00C0 98000016
	ds_read_b64 v[154:155], v22 offset:448                     // 00000000A470: D8EC01C0 9A000016
	ds_read_b64 v[156:157], v22 offset:4544                    // 00000000A478: D8EC11C0 9C000016
	ds_read_b64 v[158:159], v22 offset:4800                    // 00000000A480: D8EC12C0 9E000016
	s_waitcnt lgkmcnt(0)                                       // 00000000A488: BF8CC07F
	s_mov_b32 s70, s53                                         // 00000000A48C: BEC60035
	buffer_store_dwordx4 v[128:131], v6, s[40:43], 0 offen     // 00000000A490: E07C1000 800A8006
	buffer_store_dwordx4 v[132:135], v6, s[40:43], 0 offen offset:128// 00000000A498: E07C1080 800A8406
	s_mul_i32 s60, 8, s70                                      // 00000000A4A0: 923C4688
	v_add_u32_e32 v6, s60, v6                                  // 00000000A4A4: 680C0C3C
	buffer_store_dwordx4 v[136:139], v6, s[40:43], 0 offen     // 00000000A4A8: E07C1000 800A8806
	buffer_store_dwordx4 v[140:143], v6, s[40:43], 0 offen offset:128// 00000000A4B0: E07C1080 800A8C06
	s_mul_i32 s60, 8, s70                                      // 00000000A4B8: 923C4688
	v_add_u32_e32 v6, s60, v6                                  // 00000000A4BC: 680C0C3C
	s_mul_i32 s60, 48, s70                                     // 00000000A4C0: 923C46B0
	v_add_u32_e32 v6, s60, v6                                  // 00000000A4C4: 680C0C3C
	buffer_store_dwordx4 v[144:147], v6, s[40:43], 0 offen     // 00000000A4C8: E07C1000 800A9006
	buffer_store_dwordx4 v[148:151], v6, s[40:43], 0 offen offset:128// 00000000A4D0: E07C1080 800A9406
	s_mul_i32 s60, 8, s70                                      // 00000000A4D8: 923C4688
	v_add_u32_e32 v6, s60, v6                                  // 00000000A4DC: 680C0C3C
	buffer_store_dwordx4 v[152:155], v6, s[40:43], 0 offen     // 00000000A4E0: E07C1000 800A9806
	buffer_store_dwordx4 v[156:159], v6, s[40:43], 0 offen offset:128// 00000000A4E8: E07C1080 800A9C06
	s_mul_i32 s60, 8, s70                                      // 00000000A4F0: 923C4688
	v_add_u32_e32 v6, s60, v6                                  // 00000000A4F4: 680C0C3C
	s_mul_i32 s60, 48, s70                                     // 00000000A4F8: 923C46B0
	v_add_u32_e32 v6, s60, v6                                  // 00000000A4FC: 680C0C3C
	s_barrier                                                  // 00000000A500: BF8A0000
	s_cmp_ge_i32 2, s72                                        // 00000000A504: BF034882
	s_cbranch_scc1 label_19D2                                  // 00000000A508: BF850071
	v_mov_b32_e32 v34, v192                                    // 00000000A50C: 7E4403C0
	v_mov_b32_e32 v35, v193                                    // 00000000A510: 7E4603C1
	v_cvt_pk_bf16_f32 v160, v34, v35                           // 00000000A514: D26800A0 00024722
	v_mov_b32_e32 v34, v194                                    // 00000000A51C: 7E4403C2
	v_mov_b32_e32 v35, v195                                    // 00000000A520: 7E4603C3
	v_cvt_pk_bf16_f32 v161, v34, v35                           // 00000000A524: D26800A1 00024722
	v_mov_b32_e32 v34, v196                                    // 00000000A52C: 7E4403C4
	v_mov_b32_e32 v35, v197                                    // 00000000A530: 7E4603C5
	v_cvt_pk_bf16_f32 v162, v34, v35                           // 00000000A534: D26800A2 00024722
	v_mov_b32_e32 v34, v198                                    // 00000000A53C: 7E4403C6
	v_mov_b32_e32 v35, v199                                    // 00000000A540: 7E4603C7
	v_cvt_pk_bf16_f32 v163, v34, v35                           // 00000000A544: D26800A3 00024722
	v_mov_b32_e32 v34, v200                                    // 00000000A54C: 7E4403C8
	v_mov_b32_e32 v35, v201                                    // 00000000A550: 7E4603C9
	v_cvt_pk_bf16_f32 v164, v34, v35                           // 00000000A554: D26800A4 00024722
	v_mov_b32_e32 v34, v202                                    // 00000000A55C: 7E4403CA
	v_mov_b32_e32 v35, v203                                    // 00000000A560: 7E4603CB
	v_cvt_pk_bf16_f32 v165, v34, v35                           // 00000000A564: D26800A5 00024722
	v_mov_b32_e32 v34, v204                                    // 00000000A56C: 7E4403CC
	v_mov_b32_e32 v35, v205                                    // 00000000A570: 7E4603CD
	v_cvt_pk_bf16_f32 v166, v34, v35                           // 00000000A574: D26800A6 00024722
	v_mov_b32_e32 v34, v206                                    // 00000000A57C: 7E4403CE
	v_mov_b32_e32 v35, v207                                    // 00000000A580: 7E4603CF
	v_cvt_pk_bf16_f32 v167, v34, v35                           // 00000000A584: D26800A7 00024722
	v_mov_b32_e32 v34, v208                                    // 00000000A58C: 7E4403D0
	v_mov_b32_e32 v35, v209                                    // 00000000A590: 7E4603D1
	v_cvt_pk_bf16_f32 v168, v34, v35                           // 00000000A594: D26800A8 00024722
	v_mov_b32_e32 v34, v210                                    // 00000000A59C: 7E4403D2
	v_mov_b32_e32 v35, v211                                    // 00000000A5A0: 7E4603D3
	v_cvt_pk_bf16_f32 v169, v34, v35                           // 00000000A5A4: D26800A9 00024722
	v_mov_b32_e32 v34, v212                                    // 00000000A5AC: 7E4403D4
	v_mov_b32_e32 v35, v213                                    // 00000000A5B0: 7E4603D5
	v_cvt_pk_bf16_f32 v170, v34, v35                           // 00000000A5B4: D26800AA 00024722
	v_mov_b32_e32 v34, v214                                    // 00000000A5BC: 7E4403D6
	v_mov_b32_e32 v35, v215                                    // 00000000A5C0: 7E4603D7
	v_cvt_pk_bf16_f32 v171, v34, v35                           // 00000000A5C4: D26800AB 00024722
	v_mov_b32_e32 v34, v216                                    // 00000000A5CC: 7E4403D8
	v_mov_b32_e32 v35, v217                                    // 00000000A5D0: 7E4603D9
	v_cvt_pk_bf16_f32 v172, v34, v35                           // 00000000A5D4: D26800AC 00024722
	v_mov_b32_e32 v34, v218                                    // 00000000A5DC: 7E4403DA
	v_mov_b32_e32 v35, v219                                    // 00000000A5E0: 7E4603DB
	v_cvt_pk_bf16_f32 v173, v34, v35                           // 00000000A5E4: D26800AD 00024722
	v_mov_b32_e32 v34, v220                                    // 00000000A5EC: 7E4403DC
	v_mov_b32_e32 v35, v221                                    // 00000000A5F0: 7E4603DD
	v_cvt_pk_bf16_f32 v174, v34, v35                           // 00000000A5F4: D26800AE 00024722
	v_mov_b32_e32 v34, v222                                    // 00000000A5FC: 7E4403DE
	v_mov_b32_e32 v35, v223                                    // 00000000A600: 7E4603DF
	v_cvt_pk_bf16_f32 v175, v34, v35                           // 00000000A604: D26800AF 00024722
	ds_write_b64 v25, v[160:161] offset:52224                  // 00000000A60C: D89ACC00 0000A019
	ds_write_b64 v25, v[162:163] offset:52800                  // 00000000A614: D89ACE40 0000A219
	ds_write_b64 v25, v[164:165] offset:53376                  // 00000000A61C: D89AD080 0000A419
	ds_write_b64 v25, v[166:167] offset:53952                  // 00000000A624: D89AD2C0 0000A619
	ds_write_b64 v25, v[168:169] offset:54528                  // 00000000A62C: D89AD500 0000A819
	ds_write_b64 v25, v[170:171] offset:55104                  // 00000000A634: D89AD740 0000AA19
	ds_write_b64 v25, v[172:173] offset:55680                  // 00000000A63C: D89AD980 0000AC19
	ds_write_b64 v25, v[174:175] offset:56256                  // 00000000A644: D89ADBC0 0000AE19
	s_waitcnt lgkmcnt(0)                                       // 00000000A64C: BF8CC07F
	s_barrier                                                  // 00000000A650: BF8A0000
	ds_read_b64 v[160:161], v23 offset:52224                   // 00000000A654: D8ECCC00 A0000017
	ds_read_b64 v[162:163], v23 offset:52352                   // 00000000A65C: D8ECCC80 A2000017
	ds_read_b64 v[164:165], v23 offset:54528                   // 00000000A664: D8ECD500 A4000017
	ds_read_b64 v[166:167], v23 offset:54656                   // 00000000A66C: D8ECD580 A6000017
	ds_read_b64 v[168:169], v23 offset:52288                   // 00000000A674: D8ECCC40 A8000017
	ds_read_b64 v[170:171], v23 offset:52416                   // 00000000A67C: D8ECCCC0 AA000017
	ds_read_b64 v[172:173], v23 offset:54592                   // 00000000A684: D8ECD540 AC000017
	ds_read_b64 v[174:175], v23 offset:54720                   // 00000000A68C: D8ECD5C0 AE000017
	s_waitcnt lgkmcnt(0)                                       // 00000000A694: BF8CC07F
	s_mov_b32 s70, s53                                         // 00000000A698: BEC60035
	buffer_store_dwordx4 v[160:163], v6, s[40:43], 0 offen     // 00000000A69C: E07C1000 800AA006
	buffer_store_dwordx4 v[164:167], v6, s[40:43], 0 offen offset:128// 00000000A6A4: E07C1080 800AA406
	s_mul_i32 s60, 8, s70                                      // 00000000A6AC: 923C4688
	v_add_u32_e32 v6, s60, v6                                  // 00000000A6B0: 680C0C3C
	buffer_store_dwordx4 v[168:171], v6, s[40:43], 0 offen     // 00000000A6B4: E07C1000 800AA806
	buffer_store_dwordx4 v[172:175], v6, s[40:43], 0 offen offset:128// 00000000A6BC: E07C1080 800AAC06
	s_mul_i32 s60, 8, s70                                      // 00000000A6C4: 923C4688
	v_add_u32_e32 v6, s60, v6                                  // 00000000A6C8: 680C0C3C
	s_barrier                                                  // 00000000A6CC: BF8A0000

000000000000a6d0 <label_19D2>:
	v_accvgpr_read_b32 v34, a112                               // 00000000A6D0: D3D84022 18000170
	v_accvgpr_read_b32 v35, a113                               // 00000000A6D8: D3D84023 18000171
	v_mul_f32_e32 v34, s47, v34                                // 00000000A6E0: 0A44442F
	v_mul_f32_e32 v35, s47, v35                                // 00000000A6E4: 0A46462F
	v_cvt_pk_bf16_f32 v128, v34, v35                           // 00000000A6E8: D2680080 00024722
	v_accvgpr_read_b32 v34, a114                               // 00000000A6F0: D3D84022 18000172
	v_accvgpr_read_b32 v35, a115                               // 00000000A6F8: D3D84023 18000173
	v_mul_f32_e32 v34, s47, v34                                // 00000000A700: 0A44442F
	v_mul_f32_e32 v35, s47, v35                                // 00000000A704: 0A46462F
	v_cvt_pk_bf16_f32 v129, v34, v35                           // 00000000A708: D2680081 00024722
	v_accvgpr_read_b32 v34, a116                               // 00000000A710: D3D84022 18000174
	v_accvgpr_read_b32 v35, a117                               // 00000000A718: D3D84023 18000175
	v_mul_f32_e32 v34, s47, v34                                // 00000000A720: 0A44442F
	v_mul_f32_e32 v35, s47, v35                                // 00000000A724: 0A46462F
	v_cvt_pk_bf16_f32 v130, v34, v35                           // 00000000A728: D2680082 00024722
	v_accvgpr_read_b32 v34, a118                               // 00000000A730: D3D84022 18000176
	v_accvgpr_read_b32 v35, a119                               // 00000000A738: D3D84023 18000177
	v_mul_f32_e32 v34, s47, v34                                // 00000000A740: 0A44442F
	v_mul_f32_e32 v35, s47, v35                                // 00000000A744: 0A46462F
	v_cvt_pk_bf16_f32 v131, v34, v35                           // 00000000A748: D2680083 00024722
	v_accvgpr_read_b32 v34, a120                               // 00000000A750: D3D84022 18000178
	v_accvgpr_read_b32 v35, a121                               // 00000000A758: D3D84023 18000179
	v_mul_f32_e32 v34, s47, v34                                // 00000000A760: 0A44442F
	v_mul_f32_e32 v35, s47, v35                                // 00000000A764: 0A46462F
	v_cvt_pk_bf16_f32 v132, v34, v35                           // 00000000A768: D2680084 00024722
	v_accvgpr_read_b32 v34, a122                               // 00000000A770: D3D84022 1800017A
	v_accvgpr_read_b32 v35, a123                               // 00000000A778: D3D84023 1800017B
	v_mul_f32_e32 v34, s47, v34                                // 00000000A780: 0A44442F
	v_mul_f32_e32 v35, s47, v35                                // 00000000A784: 0A46462F
	v_cvt_pk_bf16_f32 v133, v34, v35                           // 00000000A788: D2680085 00024722
	v_accvgpr_read_b32 v34, a124                               // 00000000A790: D3D84022 1800017C
	v_accvgpr_read_b32 v35, a125                               // 00000000A798: D3D84023 1800017D
	v_mul_f32_e32 v34, s47, v34                                // 00000000A7A0: 0A44442F
	v_mul_f32_e32 v35, s47, v35                                // 00000000A7A4: 0A46462F
	v_cvt_pk_bf16_f32 v134, v34, v35                           // 00000000A7A8: D2680086 00024722
	v_accvgpr_read_b32 v34, a126                               // 00000000A7B0: D3D84022 1800017E
	v_accvgpr_read_b32 v35, a127                               // 00000000A7B8: D3D84023 1800017F
	v_mul_f32_e32 v34, s47, v34                                // 00000000A7C0: 0A44442F
	v_mul_f32_e32 v35, s47, v35                                // 00000000A7C4: 0A46462F
	v_cvt_pk_bf16_f32 v135, v34, v35                           // 00000000A7C8: D2680087 00024722
	v_accvgpr_read_b32 v34, a128                               // 00000000A7D0: D3D84022 18000180
	v_accvgpr_read_b32 v35, a129                               // 00000000A7D8: D3D84023 18000181
	v_mul_f32_e32 v34, s47, v34                                // 00000000A7E0: 0A44442F
	v_mul_f32_e32 v35, s47, v35                                // 00000000A7E4: 0A46462F
	v_cvt_pk_bf16_f32 v136, v34, v35                           // 00000000A7E8: D2680088 00024722
	v_accvgpr_read_b32 v34, a130                               // 00000000A7F0: D3D84022 18000182
	v_accvgpr_read_b32 v35, a131                               // 00000000A7F8: D3D84023 18000183
	v_mul_f32_e32 v34, s47, v34                                // 00000000A800: 0A44442F
	v_mul_f32_e32 v35, s47, v35                                // 00000000A804: 0A46462F
	v_cvt_pk_bf16_f32 v137, v34, v35                           // 00000000A808: D2680089 00024722
	v_accvgpr_read_b32 v34, a132                               // 00000000A810: D3D84022 18000184
	v_accvgpr_read_b32 v35, a133                               // 00000000A818: D3D84023 18000185
	v_mul_f32_e32 v34, s47, v34                                // 00000000A820: 0A44442F
	v_mul_f32_e32 v35, s47, v35                                // 00000000A824: 0A46462F
	v_cvt_pk_bf16_f32 v138, v34, v35                           // 00000000A828: D268008A 00024722
	v_accvgpr_read_b32 v34, a134                               // 00000000A830: D3D84022 18000186
	v_accvgpr_read_b32 v35, a135                               // 00000000A838: D3D84023 18000187
	v_mul_f32_e32 v34, s47, v34                                // 00000000A840: 0A44442F
	v_mul_f32_e32 v35, s47, v35                                // 00000000A844: 0A46462F
	v_cvt_pk_bf16_f32 v139, v34, v35                           // 00000000A848: D268008B 00024722
	v_accvgpr_read_b32 v34, a136                               // 00000000A850: D3D84022 18000188
	v_accvgpr_read_b32 v35, a137                               // 00000000A858: D3D84023 18000189
	v_mul_f32_e32 v34, s47, v34                                // 00000000A860: 0A44442F
	v_mul_f32_e32 v35, s47, v35                                // 00000000A864: 0A46462F
	v_cvt_pk_bf16_f32 v140, v34, v35                           // 00000000A868: D268008C 00024722
	v_accvgpr_read_b32 v34, a138                               // 00000000A870: D3D84022 1800018A
	v_accvgpr_read_b32 v35, a139                               // 00000000A878: D3D84023 1800018B
	v_mul_f32_e32 v34, s47, v34                                // 00000000A880: 0A44442F
	v_mul_f32_e32 v35, s47, v35                                // 00000000A884: 0A46462F
	v_cvt_pk_bf16_f32 v141, v34, v35                           // 00000000A888: D268008D 00024722
	v_accvgpr_read_b32 v34, a140                               // 00000000A890: D3D84022 1800018C
	v_accvgpr_read_b32 v35, a141                               // 00000000A898: D3D84023 1800018D
	v_mul_f32_e32 v34, s47, v34                                // 00000000A8A0: 0A44442F
	v_mul_f32_e32 v35, s47, v35                                // 00000000A8A4: 0A46462F
	v_cvt_pk_bf16_f32 v142, v34, v35                           // 00000000A8A8: D268008E 00024722
	v_accvgpr_read_b32 v34, a142                               // 00000000A8B0: D3D84022 1800018E
	v_accvgpr_read_b32 v35, a143                               // 00000000A8B8: D3D84023 1800018F
	v_mul_f32_e32 v34, s47, v34                                // 00000000A8C0: 0A44442F
	v_mul_f32_e32 v35, s47, v35                                // 00000000A8C4: 0A46462F
	v_cvt_pk_bf16_f32 v143, v34, v35                           // 00000000A8C8: D268008F 00024722
	v_accvgpr_read_b32 v34, a144                               // 00000000A8D0: D3D84022 18000190
	v_accvgpr_read_b32 v35, a145                               // 00000000A8D8: D3D84023 18000191
	v_mul_f32_e32 v34, s47, v34                                // 00000000A8E0: 0A44442F
	v_mul_f32_e32 v35, s47, v35                                // 00000000A8E4: 0A46462F
	v_cvt_pk_bf16_f32 v144, v34, v35                           // 00000000A8E8: D2680090 00024722
	v_accvgpr_read_b32 v34, a146                               // 00000000A8F0: D3D84022 18000192
	v_accvgpr_read_b32 v35, a147                               // 00000000A8F8: D3D84023 18000193
	v_mul_f32_e32 v34, s47, v34                                // 00000000A900: 0A44442F
	v_mul_f32_e32 v35, s47, v35                                // 00000000A904: 0A46462F
	v_cvt_pk_bf16_f32 v145, v34, v35                           // 00000000A908: D2680091 00024722
	v_accvgpr_read_b32 v34, a148                               // 00000000A910: D3D84022 18000194
	v_accvgpr_read_b32 v35, a149                               // 00000000A918: D3D84023 18000195
	v_mul_f32_e32 v34, s47, v34                                // 00000000A920: 0A44442F
	v_mul_f32_e32 v35, s47, v35                                // 00000000A924: 0A46462F
	v_cvt_pk_bf16_f32 v146, v34, v35                           // 00000000A928: D2680092 00024722
	v_accvgpr_read_b32 v34, a150                               // 00000000A930: D3D84022 18000196
	v_accvgpr_read_b32 v35, a151                               // 00000000A938: D3D84023 18000197
	v_mul_f32_e32 v34, s47, v34                                // 00000000A940: 0A44442F
	v_mul_f32_e32 v35, s47, v35                                // 00000000A944: 0A46462F
	v_cvt_pk_bf16_f32 v147, v34, v35                           // 00000000A948: D2680093 00024722
	v_accvgpr_read_b32 v34, a152                               // 00000000A950: D3D84022 18000198
	v_accvgpr_read_b32 v35, a153                               // 00000000A958: D3D84023 18000199
	v_mul_f32_e32 v34, s47, v34                                // 00000000A960: 0A44442F
	v_mul_f32_e32 v35, s47, v35                                // 00000000A964: 0A46462F
	v_cvt_pk_bf16_f32 v148, v34, v35                           // 00000000A968: D2680094 00024722
	v_accvgpr_read_b32 v34, a154                               // 00000000A970: D3D84022 1800019A
	v_accvgpr_read_b32 v35, a155                               // 00000000A978: D3D84023 1800019B
	v_mul_f32_e32 v34, s47, v34                                // 00000000A980: 0A44442F
	v_mul_f32_e32 v35, s47, v35                                // 00000000A984: 0A46462F
	v_cvt_pk_bf16_f32 v149, v34, v35                           // 00000000A988: D2680095 00024722
	v_accvgpr_read_b32 v34, a156                               // 00000000A990: D3D84022 1800019C
	v_accvgpr_read_b32 v35, a157                               // 00000000A998: D3D84023 1800019D
	v_mul_f32_e32 v34, s47, v34                                // 00000000A9A0: 0A44442F
	v_mul_f32_e32 v35, s47, v35                                // 00000000A9A4: 0A46462F
	v_cvt_pk_bf16_f32 v150, v34, v35                           // 00000000A9A8: D2680096 00024722
	v_accvgpr_read_b32 v34, a158                               // 00000000A9B0: D3D84022 1800019E
	v_accvgpr_read_b32 v35, a159                               // 00000000A9B8: D3D84023 1800019F
	v_mul_f32_e32 v34, s47, v34                                // 00000000A9C0: 0A44442F
	v_mul_f32_e32 v35, s47, v35                                // 00000000A9C4: 0A46462F
	v_cvt_pk_bf16_f32 v151, v34, v35                           // 00000000A9C8: D2680097 00024722
	v_accvgpr_read_b32 v34, a160                               // 00000000A9D0: D3D84022 180001A0
	v_accvgpr_read_b32 v35, a161                               // 00000000A9D8: D3D84023 180001A1
	v_mul_f32_e32 v34, s47, v34                                // 00000000A9E0: 0A44442F
	v_mul_f32_e32 v35, s47, v35                                // 00000000A9E4: 0A46462F
	v_cvt_pk_bf16_f32 v152, v34, v35                           // 00000000A9E8: D2680098 00024722
	v_accvgpr_read_b32 v34, a162                               // 00000000A9F0: D3D84022 180001A2
	v_accvgpr_read_b32 v35, a163                               // 00000000A9F8: D3D84023 180001A3
	v_mul_f32_e32 v34, s47, v34                                // 00000000AA00: 0A44442F
	v_mul_f32_e32 v35, s47, v35                                // 00000000AA04: 0A46462F
	v_cvt_pk_bf16_f32 v153, v34, v35                           // 00000000AA08: D2680099 00024722
	v_accvgpr_read_b32 v34, a164                               // 00000000AA10: D3D84022 180001A4
	v_accvgpr_read_b32 v35, a165                               // 00000000AA18: D3D84023 180001A5
	v_mul_f32_e32 v34, s47, v34                                // 00000000AA20: 0A44442F
	v_mul_f32_e32 v35, s47, v35                                // 00000000AA24: 0A46462F
	v_cvt_pk_bf16_f32 v154, v34, v35                           // 00000000AA28: D268009A 00024722
	v_accvgpr_read_b32 v34, a166                               // 00000000AA30: D3D84022 180001A6
	v_accvgpr_read_b32 v35, a167                               // 00000000AA38: D3D84023 180001A7
	v_mul_f32_e32 v34, s47, v34                                // 00000000AA40: 0A44442F
	v_mul_f32_e32 v35, s47, v35                                // 00000000AA44: 0A46462F
	v_cvt_pk_bf16_f32 v155, v34, v35                           // 00000000AA48: D268009B 00024722
	v_accvgpr_read_b32 v34, a168                               // 00000000AA50: D3D84022 180001A8
	v_accvgpr_read_b32 v35, a169                               // 00000000AA58: D3D84023 180001A9
	v_mul_f32_e32 v34, s47, v34                                // 00000000AA60: 0A44442F
	v_mul_f32_e32 v35, s47, v35                                // 00000000AA64: 0A46462F
	v_cvt_pk_bf16_f32 v156, v34, v35                           // 00000000AA68: D268009C 00024722
	v_accvgpr_read_b32 v34, a170                               // 00000000AA70: D3D84022 180001AA
	v_accvgpr_read_b32 v35, a171                               // 00000000AA78: D3D84023 180001AB
	v_mul_f32_e32 v34, s47, v34                                // 00000000AA80: 0A44442F
	v_mul_f32_e32 v35, s47, v35                                // 00000000AA84: 0A46462F
	v_cvt_pk_bf16_f32 v157, v34, v35                           // 00000000AA88: D268009D 00024722
	v_accvgpr_read_b32 v34, a172                               // 00000000AA90: D3D84022 180001AC
	v_accvgpr_read_b32 v35, a173                               // 00000000AA98: D3D84023 180001AD
	v_mul_f32_e32 v34, s47, v34                                // 00000000AAA0: 0A44442F
	v_mul_f32_e32 v35, s47, v35                                // 00000000AAA4: 0A46462F
	v_cvt_pk_bf16_f32 v158, v34, v35                           // 00000000AAA8: D268009E 00024722
	v_accvgpr_read_b32 v34, a174                               // 00000000AAB0: D3D84022 180001AE
	v_accvgpr_read_b32 v35, a175                               // 00000000AAB8: D3D84023 180001AF
	v_mul_f32_e32 v34, s47, v34                                // 00000000AAC0: 0A44442F
	v_mul_f32_e32 v35, s47, v35                                // 00000000AAC4: 0A46462F
	v_cvt_pk_bf16_f32 v159, v34, v35                           // 00000000AAC8: D268009F 00024722
	v_accvgpr_read_b32 v34, a176                               // 00000000AAD0: D3D84022 180001B0
	v_accvgpr_read_b32 v35, a177                               // 00000000AAD8: D3D84023 180001B1
	v_mul_f32_e32 v34, s47, v34                                // 00000000AAE0: 0A44442F
	v_mul_f32_e32 v35, s47, v35                                // 00000000AAE4: 0A46462F
	v_cvt_pk_bf16_f32 v160, v34, v35                           // 00000000AAE8: D26800A0 00024722
	v_accvgpr_read_b32 v34, a178                               // 00000000AAF0: D3D84022 180001B2
	v_accvgpr_read_b32 v35, a179                               // 00000000AAF8: D3D84023 180001B3
	v_mul_f32_e32 v34, s47, v34                                // 00000000AB00: 0A44442F
	v_mul_f32_e32 v35, s47, v35                                // 00000000AB04: 0A46462F
	v_cvt_pk_bf16_f32 v161, v34, v35                           // 00000000AB08: D26800A1 00024722
	v_accvgpr_read_b32 v34, a180                               // 00000000AB10: D3D84022 180001B4
	v_accvgpr_read_b32 v35, a181                               // 00000000AB18: D3D84023 180001B5
	v_mul_f32_e32 v34, s47, v34                                // 00000000AB20: 0A44442F
	v_mul_f32_e32 v35, s47, v35                                // 00000000AB24: 0A46462F
	v_cvt_pk_bf16_f32 v162, v34, v35                           // 00000000AB28: D26800A2 00024722
	v_accvgpr_read_b32 v34, a182                               // 00000000AB30: D3D84022 180001B6
	v_accvgpr_read_b32 v35, a183                               // 00000000AB38: D3D84023 180001B7
	v_mul_f32_e32 v34, s47, v34                                // 00000000AB40: 0A44442F
	v_mul_f32_e32 v35, s47, v35                                // 00000000AB44: 0A46462F
	v_cvt_pk_bf16_f32 v163, v34, v35                           // 00000000AB48: D26800A3 00024722
	v_accvgpr_read_b32 v34, a184                               // 00000000AB50: D3D84022 180001B8
	v_accvgpr_read_b32 v35, a185                               // 00000000AB58: D3D84023 180001B9
	v_mul_f32_e32 v34, s47, v34                                // 00000000AB60: 0A44442F
	v_mul_f32_e32 v35, s47, v35                                // 00000000AB64: 0A46462F
	v_cvt_pk_bf16_f32 v164, v34, v35                           // 00000000AB68: D26800A4 00024722
	v_accvgpr_read_b32 v34, a186                               // 00000000AB70: D3D84022 180001BA
	v_accvgpr_read_b32 v35, a187                               // 00000000AB78: D3D84023 180001BB
	v_mul_f32_e32 v34, s47, v34                                // 00000000AB80: 0A44442F
	v_mul_f32_e32 v35, s47, v35                                // 00000000AB84: 0A46462F
	v_cvt_pk_bf16_f32 v165, v34, v35                           // 00000000AB88: D26800A5 00024722
	v_accvgpr_read_b32 v34, a188                               // 00000000AB90: D3D84022 180001BC
	v_accvgpr_read_b32 v35, a189                               // 00000000AB98: D3D84023 180001BD
	v_mul_f32_e32 v34, s47, v34                                // 00000000ABA0: 0A44442F
	v_mul_f32_e32 v35, s47, v35                                // 00000000ABA4: 0A46462F
	v_cvt_pk_bf16_f32 v166, v34, v35                           // 00000000ABA8: D26800A6 00024722
	v_accvgpr_read_b32 v34, a190                               // 00000000ABB0: D3D84022 180001BE
	v_accvgpr_read_b32 v35, a191                               // 00000000ABB8: D3D84023 180001BF
	v_mul_f32_e32 v34, s47, v34                                // 00000000ABC0: 0A44442F
	v_mul_f32_e32 v35, s47, v35                                // 00000000ABC4: 0A46462F
	v_cvt_pk_bf16_f32 v167, v34, v35                           // 00000000ABC8: D26800A7 00024722
	v_accvgpr_read_b32 v34, a192                               // 00000000ABD0: D3D84022 180001C0
	v_accvgpr_read_b32 v35, a193                               // 00000000ABD8: D3D84023 180001C1
	v_mul_f32_e32 v34, s47, v34                                // 00000000ABE0: 0A44442F
	v_mul_f32_e32 v35, s47, v35                                // 00000000ABE4: 0A46462F
	v_cvt_pk_bf16_f32 v168, v34, v35                           // 00000000ABE8: D26800A8 00024722
	v_accvgpr_read_b32 v34, a194                               // 00000000ABF0: D3D84022 180001C2
	v_accvgpr_read_b32 v35, a195                               // 00000000ABF8: D3D84023 180001C3
	v_mul_f32_e32 v34, s47, v34                                // 00000000AC00: 0A44442F
	v_mul_f32_e32 v35, s47, v35                                // 00000000AC04: 0A46462F
	v_cvt_pk_bf16_f32 v169, v34, v35                           // 00000000AC08: D26800A9 00024722
	v_accvgpr_read_b32 v34, a196                               // 00000000AC10: D3D84022 180001C4
	v_accvgpr_read_b32 v35, a197                               // 00000000AC18: D3D84023 180001C5
	v_mul_f32_e32 v34, s47, v34                                // 00000000AC20: 0A44442F
	v_mul_f32_e32 v35, s47, v35                                // 00000000AC24: 0A46462F
	v_cvt_pk_bf16_f32 v170, v34, v35                           // 00000000AC28: D26800AA 00024722
	v_accvgpr_read_b32 v34, a198                               // 00000000AC30: D3D84022 180001C6
	v_accvgpr_read_b32 v35, a199                               // 00000000AC38: D3D84023 180001C7
	v_mul_f32_e32 v34, s47, v34                                // 00000000AC40: 0A44442F
	v_mul_f32_e32 v35, s47, v35                                // 00000000AC44: 0A46462F
	v_cvt_pk_bf16_f32 v171, v34, v35                           // 00000000AC48: D26800AB 00024722
	v_accvgpr_read_b32 v34, a200                               // 00000000AC50: D3D84022 180001C8
	v_accvgpr_read_b32 v35, a201                               // 00000000AC58: D3D84023 180001C9
	v_mul_f32_e32 v34, s47, v34                                // 00000000AC60: 0A44442F
	v_mul_f32_e32 v35, s47, v35                                // 00000000AC64: 0A46462F
	v_cvt_pk_bf16_f32 v172, v34, v35                           // 00000000AC68: D26800AC 00024722
	v_accvgpr_read_b32 v34, a202                               // 00000000AC70: D3D84022 180001CA
	v_accvgpr_read_b32 v35, a203                               // 00000000AC78: D3D84023 180001CB
	v_mul_f32_e32 v34, s47, v34                                // 00000000AC80: 0A44442F
	v_mul_f32_e32 v35, s47, v35                                // 00000000AC84: 0A46462F
	v_cvt_pk_bf16_f32 v173, v34, v35                           // 00000000AC88: D26800AD 00024722
	v_accvgpr_read_b32 v34, a204                               // 00000000AC90: D3D84022 180001CC
	v_accvgpr_read_b32 v35, a205                               // 00000000AC98: D3D84023 180001CD
	v_mul_f32_e32 v34, s47, v34                                // 00000000ACA0: 0A44442F
	v_mul_f32_e32 v35, s47, v35                                // 00000000ACA4: 0A46462F
	v_cvt_pk_bf16_f32 v174, v34, v35                           // 00000000ACA8: D26800AE 00024722
	v_accvgpr_read_b32 v34, a206                               // 00000000ACB0: D3D84022 180001CE
	v_accvgpr_read_b32 v35, a207                               // 00000000ACB8: D3D84023 180001CF
	v_mul_f32_e32 v34, s47, v34                                // 00000000ACC0: 0A44442F
	v_mul_f32_e32 v35, s47, v35                                // 00000000ACC4: 0A46462F
	v_cvt_pk_bf16_f32 v175, v34, v35                           // 00000000ACC8: D26800AF 00024722
	ds_write_b64 v24, v[128:129]                               // 00000000ACD0: D89A0000 00008018
	ds_write_b64 v24, v[130:131] offset:544                    // 00000000ACD8: D89A0220 00008218
	ds_write_b64 v24, v[132:133] offset:1088                   // 00000000ACE0: D89A0440 00008418
	ds_write_b64 v24, v[134:135] offset:1632                   // 00000000ACE8: D89A0660 00008618
	ds_write_b64 v24, v[136:137] offset:2176                   // 00000000ACF0: D89A0880 00008818
	ds_write_b64 v24, v[138:139] offset:2720                   // 00000000ACF8: D89A0AA0 00008A18
	ds_write_b64 v24, v[140:141] offset:3264                   // 00000000AD00: D89A0CC0 00008C18
	ds_write_b64 v24, v[142:143] offset:3808                   // 00000000AD08: D89A0EE0 00008E18
	ds_write_b64 v24, v[144:145] offset:4352                   // 00000000AD10: D89A1100 00009018
	ds_write_b64 v24, v[146:147] offset:4896                   // 00000000AD18: D89A1320 00009218
	ds_write_b64 v24, v[148:149] offset:5440                   // 00000000AD20: D89A1540 00009418
	ds_write_b64 v24, v[150:151] offset:5984                   // 00000000AD28: D89A1760 00009618
	ds_write_b64 v24, v[152:153] offset:6528                   // 00000000AD30: D89A1980 00009818
	ds_write_b64 v24, v[154:155] offset:7072                   // 00000000AD38: D89A1BA0 00009A18
	ds_write_b64 v24, v[156:157] offset:7616                   // 00000000AD40: D89A1DC0 00009C18
	ds_write_b64 v24, v[158:159] offset:8160                   // 00000000AD48: D89A1FE0 00009E18
	ds_write_b64 v24, v[160:161] offset:8704                   // 00000000AD50: D89A2200 0000A018
	ds_write_b64 v24, v[162:163] offset:9248                   // 00000000AD58: D89A2420 0000A218
	ds_write_b64 v24, v[164:165] offset:9792                   // 00000000AD60: D89A2640 0000A418
	ds_write_b64 v24, v[166:167] offset:10336                  // 00000000AD68: D89A2860 0000A618
	ds_write_b64 v24, v[168:169] offset:10880                  // 00000000AD70: D89A2A80 0000A818
	ds_write_b64 v24, v[170:171] offset:11424                  // 00000000AD78: D89A2CA0 0000AA18
	ds_write_b64 v24, v[172:173] offset:11968                  // 00000000AD80: D89A2EC0 0000AC18
	ds_write_b64 v24, v[174:175] offset:12512                  // 00000000AD88: D89A30E0 0000AE18
	s_waitcnt lgkmcnt(0)                                       // 00000000AD90: BF8CC07F
	s_barrier                                                  // 00000000AD94: BF8A0000
	ds_read_b64 v[128:129], v22                                // 00000000AD98: D8EC0000 80000016
	ds_read_b64 v[130:131], v22 offset:256                     // 00000000ADA0: D8EC0100 82000016
	ds_read_b64 v[132:133], v22 offset:4352                    // 00000000ADA8: D8EC1100 84000016
	ds_read_b64 v[134:135], v22 offset:4608                    // 00000000ADB0: D8EC1200 86000016
	ds_read_b64 v[136:137], v22 offset:8704                    // 00000000ADB8: D8EC2200 88000016
	ds_read_b64 v[138:139], v22 offset:8960                    // 00000000ADC0: D8EC2300 8A000016
	ds_read_b64 v[140:141], v22 offset:64                      // 00000000ADC8: D8EC0040 8C000016
	ds_read_b64 v[142:143], v22 offset:320                     // 00000000ADD0: D8EC0140 8E000016
	ds_read_b64 v[144:145], v22 offset:4416                    // 00000000ADD8: D8EC1140 90000016
	ds_read_b64 v[146:147], v22 offset:4672                    // 00000000ADE0: D8EC1240 92000016
	ds_read_b64 v[148:149], v22 offset:8768                    // 00000000ADE8: D8EC2240 94000016
	ds_read_b64 v[150:151], v22 offset:9024                    // 00000000ADF0: D8EC2340 96000016
	ds_read_b64 v[152:153], v22 offset:128                     // 00000000ADF8: D8EC0080 98000016
	ds_read_b64 v[154:155], v22 offset:384                     // 00000000AE00: D8EC0180 9A000016
	ds_read_b64 v[156:157], v22 offset:4480                    // 00000000AE08: D8EC1180 9C000016
	ds_read_b64 v[158:159], v22 offset:4736                    // 00000000AE10: D8EC1280 9E000016
	ds_read_b64 v[160:161], v22 offset:8832                    // 00000000AE18: D8EC2280 A0000016
	ds_read_b64 v[162:163], v22 offset:9088                    // 00000000AE20: D8EC2380 A2000016
	ds_read_b64 v[164:165], v22 offset:192                     // 00000000AE28: D8EC00C0 A4000016
	ds_read_b64 v[166:167], v22 offset:448                     // 00000000AE30: D8EC01C0 A6000016
	ds_read_b64 v[168:169], v22 offset:4544                    // 00000000AE38: D8EC11C0 A8000016
	ds_read_b64 v[170:171], v22 offset:4800                    // 00000000AE40: D8EC12C0 AA000016
	ds_read_b64 v[172:173], v22 offset:8896                    // 00000000AE48: D8EC22C0 AC000016
	ds_read_b64 v[174:175], v22 offset:9152                    // 00000000AE50: D8EC23C0 AE000016
	s_waitcnt lgkmcnt(0)                                       // 00000000AE58: BF8CC07F
	s_mov_b32 s70, s52                                         // 00000000AE5C: BEC60034
	buffer_store_dwordx4 v[128:131], v5, s[36:39], 0 offen     // 00000000AE60: E07C1000 80098005
	buffer_store_dwordx4 v[132:135], v5, s[36:39], 0 offen offset:128// 00000000AE68: E07C1080 80098405
	buffer_store_dwordx4 v[136:139], v5, s[36:39], 0 offen offset:256// 00000000AE70: E07C1100 80098805
	s_mul_i32 s60, 8, s70                                      // 00000000AE78: 923C4688
	v_add_u32_e32 v5, s60, v5                                  // 00000000AE7C: 680A0A3C
	buffer_store_dwordx4 v[140:143], v5, s[36:39], 0 offen     // 00000000AE80: E07C1000 80098C05
	buffer_store_dwordx4 v[144:147], v5, s[36:39], 0 offen offset:128// 00000000AE88: E07C1080 80099005
	buffer_store_dwordx4 v[148:151], v5, s[36:39], 0 offen offset:256// 00000000AE90: E07C1100 80099405
	s_mul_i32 s60, 8, s70                                      // 00000000AE98: 923C4688
	v_add_u32_e32 v5, s60, v5                                  // 00000000AE9C: 680A0A3C
	s_mul_i32 s60, 48, s70                                     // 00000000AEA0: 923C46B0
	v_add_u32_e32 v5, s60, v5                                  // 00000000AEA4: 680A0A3C
	buffer_store_dwordx4 v[152:155], v5, s[36:39], 0 offen     // 00000000AEA8: E07C1000 80099805
	buffer_store_dwordx4 v[156:159], v5, s[36:39], 0 offen offset:128// 00000000AEB0: E07C1080 80099C05
	buffer_store_dwordx4 v[160:163], v5, s[36:39], 0 offen offset:256// 00000000AEB8: E07C1100 8009A005
	s_mul_i32 s60, 8, s70                                      // 00000000AEC0: 923C4688
	v_add_u32_e32 v5, s60, v5                                  // 00000000AEC4: 680A0A3C
	buffer_store_dwordx4 v[164:167], v5, s[36:39], 0 offen     // 00000000AEC8: E07C1000 8009A405
	buffer_store_dwordx4 v[168:171], v5, s[36:39], 0 offen offset:128// 00000000AED0: E07C1080 8009A805
	buffer_store_dwordx4 v[172:175], v5, s[36:39], 0 offen offset:256// 00000000AED8: E07C1100 8009AC05
	s_mul_i32 s60, 8, s70                                      // 00000000AEE0: 923C4688
	v_add_u32_e32 v5, s60, v5                                  // 00000000AEE4: 680A0A3C
	s_mul_i32 s60, 48, s70                                     // 00000000AEE8: 923C46B0
	v_add_u32_e32 v5, s60, v5                                  // 00000000AEEC: 680A0A3C
	s_cmp_ge_i32 2, s72                                        // 00000000AEF0: BF034882
	s_cbranch_scc1 label_1CE0                                  // 00000000AEF4: BF850104
	v_accvgpr_read_b32 v34, a208                               // 00000000AEF8: D3D84022 180001D0
	v_accvgpr_read_b32 v35, a209                               // 00000000AF00: D3D84023 180001D1
	v_mul_f32_e32 v34, s47, v34                                // 00000000AF08: 0A44442F
	v_mul_f32_e32 v35, s47, v35                                // 00000000AF0C: 0A46462F
	v_cvt_pk_bf16_f32 v176, v34, v35                           // 00000000AF10: D26800B0 00024722
	v_accvgpr_read_b32 v34, a210                               // 00000000AF18: D3D84022 180001D2
	v_accvgpr_read_b32 v35, a211                               // 00000000AF20: D3D84023 180001D3
	v_mul_f32_e32 v34, s47, v34                                // 00000000AF28: 0A44442F
	v_mul_f32_e32 v35, s47, v35                                // 00000000AF2C: 0A46462F
	v_cvt_pk_bf16_f32 v177, v34, v35                           // 00000000AF30: D26800B1 00024722
	v_accvgpr_read_b32 v34, a212                               // 00000000AF38: D3D84022 180001D4
	v_accvgpr_read_b32 v35, a213                               // 00000000AF40: D3D84023 180001D5
	v_mul_f32_e32 v34, s47, v34                                // 00000000AF48: 0A44442F
	v_mul_f32_e32 v35, s47, v35                                // 00000000AF4C: 0A46462F
	v_cvt_pk_bf16_f32 v178, v34, v35                           // 00000000AF50: D26800B2 00024722
	v_accvgpr_read_b32 v34, a214                               // 00000000AF58: D3D84022 180001D6
	v_accvgpr_read_b32 v35, a215                               // 00000000AF60: D3D84023 180001D7
	v_mul_f32_e32 v34, s47, v34                                // 00000000AF68: 0A44442F
	v_mul_f32_e32 v35, s47, v35                                // 00000000AF6C: 0A46462F
	v_cvt_pk_bf16_f32 v179, v34, v35                           // 00000000AF70: D26800B3 00024722
	v_accvgpr_read_b32 v34, a216                               // 00000000AF78: D3D84022 180001D8
	v_accvgpr_read_b32 v35, a217                               // 00000000AF80: D3D84023 180001D9
	v_mul_f32_e32 v34, s47, v34                                // 00000000AF88: 0A44442F
	v_mul_f32_e32 v35, s47, v35                                // 00000000AF8C: 0A46462F
	v_cvt_pk_bf16_f32 v180, v34, v35                           // 00000000AF90: D26800B4 00024722
	v_accvgpr_read_b32 v34, a218                               // 00000000AF98: D3D84022 180001DA
	v_accvgpr_read_b32 v35, a219                               // 00000000AFA0: D3D84023 180001DB
	v_mul_f32_e32 v34, s47, v34                                // 00000000AFA8: 0A44442F
	v_mul_f32_e32 v35, s47, v35                                // 00000000AFAC: 0A46462F
	v_cvt_pk_bf16_f32 v181, v34, v35                           // 00000000AFB0: D26800B5 00024722
	v_accvgpr_read_b32 v34, a220                               // 00000000AFB8: D3D84022 180001DC
	v_accvgpr_read_b32 v35, a221                               // 00000000AFC0: D3D84023 180001DD
	v_mul_f32_e32 v34, s47, v34                                // 00000000AFC8: 0A44442F
	v_mul_f32_e32 v35, s47, v35                                // 00000000AFCC: 0A46462F
	v_cvt_pk_bf16_f32 v182, v34, v35                           // 00000000AFD0: D26800B6 00024722
	v_accvgpr_read_b32 v34, a222                               // 00000000AFD8: D3D84022 180001DE
	v_accvgpr_read_b32 v35, a223                               // 00000000AFE0: D3D84023 180001DF
	v_mul_f32_e32 v34, s47, v34                                // 00000000AFE8: 0A44442F
	v_mul_f32_e32 v35, s47, v35                                // 00000000AFEC: 0A46462F
	v_cvt_pk_bf16_f32 v183, v34, v35                           // 00000000AFF0: D26800B7 00024722
	v_accvgpr_read_b32 v34, a224                               // 00000000AFF8: D3D84022 180001E0
	v_accvgpr_read_b32 v35, a225                               // 00000000B000: D3D84023 180001E1
	v_mul_f32_e32 v34, s47, v34                                // 00000000B008: 0A44442F
	v_mul_f32_e32 v35, s47, v35                                // 00000000B00C: 0A46462F
	v_cvt_pk_bf16_f32 v184, v34, v35                           // 00000000B010: D26800B8 00024722
	v_accvgpr_read_b32 v34, a226                               // 00000000B018: D3D84022 180001E2
	v_accvgpr_read_b32 v35, a227                               // 00000000B020: D3D84023 180001E3
	v_mul_f32_e32 v34, s47, v34                                // 00000000B028: 0A44442F
	v_mul_f32_e32 v35, s47, v35                                // 00000000B02C: 0A46462F
	v_cvt_pk_bf16_f32 v185, v34, v35                           // 00000000B030: D26800B9 00024722
	v_accvgpr_read_b32 v34, a228                               // 00000000B038: D3D84022 180001E4
	v_accvgpr_read_b32 v35, a229                               // 00000000B040: D3D84023 180001E5
	v_mul_f32_e32 v34, s47, v34                                // 00000000B048: 0A44442F
	v_mul_f32_e32 v35, s47, v35                                // 00000000B04C: 0A46462F
	v_cvt_pk_bf16_f32 v186, v34, v35                           // 00000000B050: D26800BA 00024722
	v_accvgpr_read_b32 v34, a230                               // 00000000B058: D3D84022 180001E6
	v_accvgpr_read_b32 v35, a231                               // 00000000B060: D3D84023 180001E7
	v_mul_f32_e32 v34, s47, v34                                // 00000000B068: 0A44442F
	v_mul_f32_e32 v35, s47, v35                                // 00000000B06C: 0A46462F
	v_cvt_pk_bf16_f32 v187, v34, v35                           // 00000000B070: D26800BB 00024722
	v_accvgpr_read_b32 v34, a232                               // 00000000B078: D3D84022 180001E8
	v_accvgpr_read_b32 v35, a233                               // 00000000B080: D3D84023 180001E9
	v_mul_f32_e32 v34, s47, v34                                // 00000000B088: 0A44442F
	v_mul_f32_e32 v35, s47, v35                                // 00000000B08C: 0A46462F
	v_cvt_pk_bf16_f32 v188, v34, v35                           // 00000000B090: D26800BC 00024722
	v_accvgpr_read_b32 v34, a234                               // 00000000B098: D3D84022 180001EA
	v_accvgpr_read_b32 v35, a235                               // 00000000B0A0: D3D84023 180001EB
	v_mul_f32_e32 v34, s47, v34                                // 00000000B0A8: 0A44442F
	v_mul_f32_e32 v35, s47, v35                                // 00000000B0AC: 0A46462F
	v_cvt_pk_bf16_f32 v189, v34, v35                           // 00000000B0B0: D26800BD 00024722
	v_accvgpr_read_b32 v34, a236                               // 00000000B0B8: D3D84022 180001EC
	v_accvgpr_read_b32 v35, a237                               // 00000000B0C0: D3D84023 180001ED
	v_mul_f32_e32 v34, s47, v34                                // 00000000B0C8: 0A44442F
	v_mul_f32_e32 v35, s47, v35                                // 00000000B0CC: 0A46462F
	v_cvt_pk_bf16_f32 v190, v34, v35                           // 00000000B0D0: D26800BE 00024722
	v_accvgpr_read_b32 v34, a238                               // 00000000B0D8: D3D84022 180001EE
	v_accvgpr_read_b32 v35, a239                               // 00000000B0E0: D3D84023 180001EF
	v_mul_f32_e32 v34, s47, v34                                // 00000000B0E8: 0A44442F
	v_mul_f32_e32 v35, s47, v35                                // 00000000B0EC: 0A46462F
	v_cvt_pk_bf16_f32 v191, v34, v35                           // 00000000B0F0: D26800BF 00024722
	v_accvgpr_read_b32 v34, a240                               // 00000000B0F8: D3D84022 180001F0
	v_accvgpr_read_b32 v35, a241                               // 00000000B100: D3D84023 180001F1
	v_mul_f32_e32 v34, s47, v34                                // 00000000B108: 0A44442F
	v_mul_f32_e32 v35, s47, v35                                // 00000000B10C: 0A46462F
	v_cvt_pk_bf16_f32 v192, v34, v35                           // 00000000B110: D26800C0 00024722
	v_accvgpr_read_b32 v34, a242                               // 00000000B118: D3D84022 180001F2
	v_accvgpr_read_b32 v35, a243                               // 00000000B120: D3D84023 180001F3
	v_mul_f32_e32 v34, s47, v34                                // 00000000B128: 0A44442F
	v_mul_f32_e32 v35, s47, v35                                // 00000000B12C: 0A46462F
	v_cvt_pk_bf16_f32 v193, v34, v35                           // 00000000B130: D26800C1 00024722
	v_accvgpr_read_b32 v34, a244                               // 00000000B138: D3D84022 180001F4
	v_accvgpr_read_b32 v35, a245                               // 00000000B140: D3D84023 180001F5
	v_mul_f32_e32 v34, s47, v34                                // 00000000B148: 0A44442F
	v_mul_f32_e32 v35, s47, v35                                // 00000000B14C: 0A46462F
	v_cvt_pk_bf16_f32 v194, v34, v35                           // 00000000B150: D26800C2 00024722
	v_accvgpr_read_b32 v34, a246                               // 00000000B158: D3D84022 180001F6
	v_accvgpr_read_b32 v35, a247                               // 00000000B160: D3D84023 180001F7
	v_mul_f32_e32 v34, s47, v34                                // 00000000B168: 0A44442F
	v_mul_f32_e32 v35, s47, v35                                // 00000000B16C: 0A46462F
	v_cvt_pk_bf16_f32 v195, v34, v35                           // 00000000B170: D26800C3 00024722
	v_accvgpr_read_b32 v34, a248                               // 00000000B178: D3D84022 180001F8
	v_accvgpr_read_b32 v35, a249                               // 00000000B180: D3D84023 180001F9
	v_mul_f32_e32 v34, s47, v34                                // 00000000B188: 0A44442F
	v_mul_f32_e32 v35, s47, v35                                // 00000000B18C: 0A46462F
	v_cvt_pk_bf16_f32 v196, v34, v35                           // 00000000B190: D26800C4 00024722
	v_accvgpr_read_b32 v34, a250                               // 00000000B198: D3D84022 180001FA
	v_accvgpr_read_b32 v35, a251                               // 00000000B1A0: D3D84023 180001FB
	v_mul_f32_e32 v34, s47, v34                                // 00000000B1A8: 0A44442F
	v_mul_f32_e32 v35, s47, v35                                // 00000000B1AC: 0A46462F
	v_cvt_pk_bf16_f32 v197, v34, v35                           // 00000000B1B0: D26800C5 00024722
	v_accvgpr_read_b32 v34, a252                               // 00000000B1B8: D3D84022 180001FC
	v_accvgpr_read_b32 v35, a253                               // 00000000B1C0: D3D84023 180001FD
	v_mul_f32_e32 v34, s47, v34                                // 00000000B1C8: 0A44442F
	v_mul_f32_e32 v35, s47, v35                                // 00000000B1CC: 0A46462F
	v_cvt_pk_bf16_f32 v198, v34, v35                           // 00000000B1D0: D26800C6 00024722
	v_accvgpr_read_b32 v34, a254                               // 00000000B1D8: D3D84022 180001FE
	v_accvgpr_read_b32 v35, a255                               // 00000000B1E0: D3D84023 180001FF
	v_mul_f32_e32 v34, s47, v34                                // 00000000B1E8: 0A44442F
	v_mul_f32_e32 v35, s47, v35                                // 00000000B1EC: 0A46462F
	v_cvt_pk_bf16_f32 v199, v34, v35                           // 00000000B1F0: D26800C7 00024722
	ds_write_b64 v25, v[176:177] offset:52224                  // 00000000B1F8: D89ACC00 0000B019
	ds_write_b64 v25, v[178:179] offset:52800                  // 00000000B200: D89ACE40 0000B219
	ds_write_b64 v25, v[180:181] offset:53376                  // 00000000B208: D89AD080 0000B419
	ds_write_b64 v25, v[182:183] offset:53952                  // 00000000B210: D89AD2C0 0000B619
	ds_write_b64 v25, v[184:185] offset:54528                  // 00000000B218: D89AD500 0000B819
	ds_write_b64 v25, v[186:187] offset:55104                  // 00000000B220: D89AD740 0000BA19
	ds_write_b64 v25, v[188:189] offset:55680                  // 00000000B228: D89AD980 0000BC19
	ds_write_b64 v25, v[190:191] offset:56256                  // 00000000B230: D89ADBC0 0000BE19
	ds_write_b64 v25, v[192:193] offset:56832                  // 00000000B238: D89ADE00 0000C019
	ds_write_b64 v25, v[194:195] offset:57408                  // 00000000B240: D89AE040 0000C219
	ds_write_b64 v25, v[196:197] offset:57984                  // 00000000B248: D89AE280 0000C419
	ds_write_b64 v25, v[198:199] offset:58560                  // 00000000B250: D89AE4C0 0000C619
	s_waitcnt lgkmcnt(0)                                       // 00000000B258: BF8CC07F
	s_barrier                                                  // 00000000B25C: BF8A0000
	ds_read_b64 v[176:177], v23 offset:52224                   // 00000000B260: D8ECCC00 B0000017
	ds_read_b64 v[178:179], v23 offset:52352                   // 00000000B268: D8ECCC80 B2000017
	ds_read_b64 v[180:181], v23 offset:54528                   // 00000000B270: D8ECD500 B4000017
	ds_read_b64 v[182:183], v23 offset:54656                   // 00000000B278: D8ECD580 B6000017
	ds_read_b64 v[184:185], v23 offset:56832                   // 00000000B280: D8ECDE00 B8000017
	ds_read_b64 v[186:187], v23 offset:56960                   // 00000000B288: D8ECDE80 BA000017
	ds_read_b64 v[188:189], v23 offset:52288                   // 00000000B290: D8ECCC40 BC000017
	ds_read_b64 v[190:191], v23 offset:52416                   // 00000000B298: D8ECCCC0 BE000017
	ds_read_b64 v[192:193], v23 offset:54592                   // 00000000B2A0: D8ECD540 C0000017
	ds_read_b64 v[194:195], v23 offset:54720                   // 00000000B2A8: D8ECD5C0 C2000017
	ds_read_b64 v[196:197], v23 offset:56896                   // 00000000B2B0: D8ECDE40 C4000017
	ds_read_b64 v[198:199], v23 offset:57024                   // 00000000B2B8: D8ECDEC0 C6000017
	s_waitcnt lgkmcnt(0)                                       // 00000000B2C0: BF8CC07F
	s_mov_b32 s70, s52                                         // 00000000B2C4: BEC60034
	buffer_store_dwordx4 v[176:179], v5, s[36:39], 0 offen     // 00000000B2C8: E07C1000 8009B005
	buffer_store_dwordx4 v[180:183], v5, s[36:39], 0 offen offset:128// 00000000B2D0: E07C1080 8009B405
	buffer_store_dwordx4 v[184:187], v5, s[36:39], 0 offen offset:256// 00000000B2D8: E07C1100 8009B805
	s_mul_i32 s60, 8, s70                                      // 00000000B2E0: 923C4688
	v_add_u32_e32 v5, s60, v5                                  // 00000000B2E4: 680A0A3C
	buffer_store_dwordx4 v[188:191], v5, s[36:39], 0 offen     // 00000000B2E8: E07C1000 8009BC05
	buffer_store_dwordx4 v[192:195], v5, s[36:39], 0 offen offset:128// 00000000B2F0: E07C1080 8009C005
	buffer_store_dwordx4 v[196:199], v5, s[36:39], 0 offen offset:256// 00000000B2F8: E07C1100 8009C405
	s_mul_i32 s60, 8, s70                                      // 00000000B300: 923C4688
	v_add_u32_e32 v5, s60, v5                                  // 00000000B304: 680A0A3C

000000000000b308 <label_1CE0>:
	s_waitcnt vmcnt(0) expcnt(0) lgkmcnt(0)                    // 00000000B308: BF8C0000
	s_sub_i32 s60, s77, 1                                      // 00000000B30C: 81BC814D
	s_sub_i32 s2, s60, s2                                      // 00000000B310: 8182023C
	s_addk_i32 s75, 0x1                                        // 00000000B314: B74B0001
	s_cmp_lt_i32 s75, s76                                      // 00000000B318: BF044C4B
	s_cbranch_scc1 label_0150                                  // 00000000B31C: BF85E488
	s_waitcnt vmcnt(0) expcnt(0) lgkmcnt(0)                    // 00000000B320: BF8C0000
	s_endpgm                                                   // 00000000B324: BF810000
